;; amdgpu-corpus repo=ROCm/rocFFT kind=compiled arch=gfx1030 opt=O3
	.text
	.amdgcn_target "amdgcn-amd-amdhsa--gfx1030"
	.amdhsa_code_object_version 6
	.protected	fft_rtc_fwd_len510_factors_17_2_3_5_wgs_238_tpt_34_halfLds_dp_ip_CI_unitstride_sbrr_C2R_dirReg ; -- Begin function fft_rtc_fwd_len510_factors_17_2_3_5_wgs_238_tpt_34_halfLds_dp_ip_CI_unitstride_sbrr_C2R_dirReg
	.globl	fft_rtc_fwd_len510_factors_17_2_3_5_wgs_238_tpt_34_halfLds_dp_ip_CI_unitstride_sbrr_C2R_dirReg
	.p2align	8
	.type	fft_rtc_fwd_len510_factors_17_2_3_5_wgs_238_tpt_34_halfLds_dp_ip_CI_unitstride_sbrr_C2R_dirReg,@function
fft_rtc_fwd_len510_factors_17_2_3_5_wgs_238_tpt_34_halfLds_dp_ip_CI_unitstride_sbrr_C2R_dirReg: ; @fft_rtc_fwd_len510_factors_17_2_3_5_wgs_238_tpt_34_halfLds_dp_ip_CI_unitstride_sbrr_C2R_dirReg
; %bb.0:
	s_load_dwordx4 s[8:11], s[4:5], 0x0
	v_mul_u32_u24_e32 v1, 0x788, v0
	s_clause 0x1
	s_load_dwordx2 s[2:3], s[4:5], 0x50
	s_load_dwordx2 s[12:13], s[4:5], 0x18
	v_mov_b32_e32 v5, 0
	v_mov_b32_e32 v3, 0
	;; [unrolled: 1-line block ×3, first 2 shown]
	v_lshrrev_b32_e32 v1, 16, v1
	v_mad_u64_u32 v[1:2], null, s6, 7, v[1:2]
	v_mov_b32_e32 v2, v5
	v_mov_b32_e32 v10, v2
	;; [unrolled: 1-line block ×3, first 2 shown]
	s_waitcnt lgkmcnt(0)
	v_cmp_lt_u64_e64 s0, s[10:11], 2
	s_and_b32 vcc_lo, exec_lo, s0
	s_cbranch_vccnz .LBB0_8
; %bb.1:
	s_load_dwordx2 s[0:1], s[4:5], 0x10
	v_mov_b32_e32 v3, 0
	v_mov_b32_e32 v8, v2
	s_add_u32 s6, s12, 8
	v_mov_b32_e32 v4, 0
	v_mov_b32_e32 v7, v1
	s_addc_u32 s7, s13, 0
	s_mov_b64 s[16:17], 1
	s_waitcnt lgkmcnt(0)
	s_add_u32 s14, s0, 8
	s_addc_u32 s15, s1, 0
.LBB0_2:                                ; =>This Inner Loop Header: Depth=1
	s_load_dwordx2 s[18:19], s[14:15], 0x0
                                        ; implicit-def: $vgpr9_vgpr10
	s_mov_b32 s0, exec_lo
	s_waitcnt lgkmcnt(0)
	v_or_b32_e32 v6, s19, v8
	v_cmpx_ne_u64_e32 0, v[5:6]
	s_xor_b32 s1, exec_lo, s0
	s_cbranch_execz .LBB0_4
; %bb.3:                                ;   in Loop: Header=BB0_2 Depth=1
	v_cvt_f32_u32_e32 v2, s18
	v_cvt_f32_u32_e32 v6, s19
	s_sub_u32 s0, 0, s18
	s_subb_u32 s20, 0, s19
	v_fmac_f32_e32 v2, 0x4f800000, v6
	v_rcp_f32_e32 v2, v2
	v_mul_f32_e32 v2, 0x5f7ffffc, v2
	v_mul_f32_e32 v6, 0x2f800000, v2
	v_trunc_f32_e32 v6, v6
	v_fmac_f32_e32 v2, 0xcf800000, v6
	v_cvt_u32_f32_e32 v6, v6
	v_cvt_u32_f32_e32 v2, v2
	v_mul_lo_u32 v9, s0, v6
	v_mul_hi_u32 v10, s0, v2
	v_mul_lo_u32 v11, s20, v2
	v_add_nc_u32_e32 v9, v10, v9
	v_mul_lo_u32 v10, s0, v2
	v_add_nc_u32_e32 v9, v9, v11
	v_mul_hi_u32 v11, v2, v10
	v_mul_lo_u32 v12, v2, v9
	v_mul_hi_u32 v13, v2, v9
	v_mul_hi_u32 v14, v6, v10
	v_mul_lo_u32 v10, v6, v10
	v_mul_hi_u32 v15, v6, v9
	v_mul_lo_u32 v9, v6, v9
	v_add_co_u32 v11, vcc_lo, v11, v12
	v_add_co_ci_u32_e32 v12, vcc_lo, 0, v13, vcc_lo
	v_add_co_u32 v10, vcc_lo, v11, v10
	v_add_co_ci_u32_e32 v10, vcc_lo, v12, v14, vcc_lo
	v_add_co_ci_u32_e32 v11, vcc_lo, 0, v15, vcc_lo
	v_add_co_u32 v9, vcc_lo, v10, v9
	v_add_co_ci_u32_e32 v10, vcc_lo, 0, v11, vcc_lo
	v_add_co_u32 v2, vcc_lo, v2, v9
	v_add_co_ci_u32_e32 v6, vcc_lo, v6, v10, vcc_lo
	v_mul_hi_u32 v9, s0, v2
	v_mul_lo_u32 v11, s20, v2
	v_mul_lo_u32 v10, s0, v6
	v_add_nc_u32_e32 v9, v9, v10
	v_mul_lo_u32 v10, s0, v2
	v_add_nc_u32_e32 v9, v9, v11
	v_mul_hi_u32 v11, v2, v10
	v_mul_lo_u32 v12, v2, v9
	v_mul_hi_u32 v13, v2, v9
	v_mul_hi_u32 v14, v6, v10
	v_mul_lo_u32 v10, v6, v10
	v_mul_hi_u32 v15, v6, v9
	v_mul_lo_u32 v9, v6, v9
	v_add_co_u32 v11, vcc_lo, v11, v12
	v_add_co_ci_u32_e32 v12, vcc_lo, 0, v13, vcc_lo
	v_add_co_u32 v10, vcc_lo, v11, v10
	v_add_co_ci_u32_e32 v10, vcc_lo, v12, v14, vcc_lo
	v_add_co_ci_u32_e32 v11, vcc_lo, 0, v15, vcc_lo
	v_add_co_u32 v9, vcc_lo, v10, v9
	v_add_co_ci_u32_e32 v10, vcc_lo, 0, v11, vcc_lo
	v_add_co_u32 v2, vcc_lo, v2, v9
	v_add_co_ci_u32_e32 v6, vcc_lo, v6, v10, vcc_lo
	v_mul_hi_u32 v15, v7, v2
	v_mad_u64_u32 v[11:12], null, v8, v2, 0
	v_mad_u64_u32 v[9:10], null, v7, v6, 0
	v_mad_u64_u32 v[13:14], null, v8, v6, 0
	v_add_co_u32 v2, vcc_lo, v15, v9
	v_add_co_ci_u32_e32 v6, vcc_lo, 0, v10, vcc_lo
	v_add_co_u32 v2, vcc_lo, v2, v11
	v_add_co_ci_u32_e32 v2, vcc_lo, v6, v12, vcc_lo
	v_add_co_ci_u32_e32 v6, vcc_lo, 0, v14, vcc_lo
	v_add_co_u32 v2, vcc_lo, v2, v13
	v_add_co_ci_u32_e32 v6, vcc_lo, 0, v6, vcc_lo
	v_mul_lo_u32 v11, s19, v2
	v_mad_u64_u32 v[9:10], null, s18, v2, 0
	v_mul_lo_u32 v12, s18, v6
	v_sub_co_u32 v9, vcc_lo, v7, v9
	v_add3_u32 v10, v10, v12, v11
	v_sub_nc_u32_e32 v11, v8, v10
	v_subrev_co_ci_u32_e64 v11, s0, s19, v11, vcc_lo
	v_add_co_u32 v12, s0, v2, 2
	v_add_co_ci_u32_e64 v13, s0, 0, v6, s0
	v_sub_co_u32 v14, s0, v9, s18
	v_sub_co_ci_u32_e32 v10, vcc_lo, v8, v10, vcc_lo
	v_subrev_co_ci_u32_e64 v11, s0, 0, v11, s0
	v_cmp_le_u32_e32 vcc_lo, s18, v14
	v_cmp_eq_u32_e64 s0, s19, v10
	v_cndmask_b32_e64 v14, 0, -1, vcc_lo
	v_cmp_le_u32_e32 vcc_lo, s19, v11
	v_cndmask_b32_e64 v15, 0, -1, vcc_lo
	v_cmp_le_u32_e32 vcc_lo, s18, v9
	;; [unrolled: 2-line block ×3, first 2 shown]
	v_cndmask_b32_e64 v16, 0, -1, vcc_lo
	v_cmp_eq_u32_e32 vcc_lo, s19, v11
	v_cndmask_b32_e64 v9, v16, v9, s0
	v_cndmask_b32_e32 v11, v15, v14, vcc_lo
	v_add_co_u32 v14, vcc_lo, v2, 1
	v_add_co_ci_u32_e32 v15, vcc_lo, 0, v6, vcc_lo
	v_cmp_ne_u32_e32 vcc_lo, 0, v11
	v_cndmask_b32_e32 v10, v15, v13, vcc_lo
	v_cndmask_b32_e32 v11, v14, v12, vcc_lo
	v_cmp_ne_u32_e32 vcc_lo, 0, v9
	v_cndmask_b32_e32 v10, v6, v10, vcc_lo
	v_cndmask_b32_e32 v9, v2, v11, vcc_lo
.LBB0_4:                                ;   in Loop: Header=BB0_2 Depth=1
	s_andn2_saveexec_b32 s0, s1
	s_cbranch_execz .LBB0_6
; %bb.5:                                ;   in Loop: Header=BB0_2 Depth=1
	v_cvt_f32_u32_e32 v2, s18
	s_sub_i32 s1, 0, s18
	v_rcp_iflag_f32_e32 v2, v2
	v_mul_f32_e32 v2, 0x4f7ffffe, v2
	v_cvt_u32_f32_e32 v2, v2
	v_mul_lo_u32 v6, s1, v2
	v_mul_hi_u32 v6, v2, v6
	v_add_nc_u32_e32 v2, v2, v6
	v_mul_hi_u32 v2, v7, v2
	v_mul_lo_u32 v6, v2, s18
	v_add_nc_u32_e32 v9, 1, v2
	v_sub_nc_u32_e32 v6, v7, v6
	v_subrev_nc_u32_e32 v10, s18, v6
	v_cmp_le_u32_e32 vcc_lo, s18, v6
	v_cndmask_b32_e32 v6, v6, v10, vcc_lo
	v_cndmask_b32_e32 v2, v2, v9, vcc_lo
	v_mov_b32_e32 v10, v5
	v_cmp_le_u32_e32 vcc_lo, s18, v6
	v_add_nc_u32_e32 v9, 1, v2
	v_cndmask_b32_e32 v9, v2, v9, vcc_lo
.LBB0_6:                                ;   in Loop: Header=BB0_2 Depth=1
	s_or_b32 exec_lo, exec_lo, s0
	s_load_dwordx2 s[0:1], s[6:7], 0x0
	v_mul_lo_u32 v2, v10, s18
	v_mul_lo_u32 v6, v9, s19
	v_mad_u64_u32 v[11:12], null, v9, s18, 0
	s_add_u32 s16, s16, 1
	s_addc_u32 s17, s17, 0
	s_add_u32 s6, s6, 8
	s_addc_u32 s7, s7, 0
	;; [unrolled: 2-line block ×3, first 2 shown]
	v_add3_u32 v2, v12, v6, v2
	v_sub_co_u32 v6, vcc_lo, v7, v11
	v_sub_co_ci_u32_e32 v2, vcc_lo, v8, v2, vcc_lo
	s_waitcnt lgkmcnt(0)
	v_mul_lo_u32 v7, s1, v6
	v_mul_lo_u32 v2, s0, v2
	v_mad_u64_u32 v[3:4], null, s0, v6, v[3:4]
	v_cmp_ge_u64_e64 s0, s[16:17], s[10:11]
	s_and_b32 vcc_lo, exec_lo, s0
	v_add3_u32 v4, v7, v4, v2
	s_cbranch_vccnz .LBB0_8
; %bb.7:                                ;   in Loop: Header=BB0_2 Depth=1
	v_mov_b32_e32 v7, v9
	v_mov_b32_e32 v8, v10
	s_branch .LBB0_2
.LBB0_8:
	v_mul_hi_u32 v2, 0x24924925, v1
	s_lshl_b64 s[0:1], s[10:11], 3
	s_load_dwordx2 s[4:5], s[4:5], 0x20
	s_add_u32 s0, s12, s0
	s_addc_u32 s1, s13, s1
	v_mul_hi_u32 v8, 0x7878788, v0
	s_load_dwordx2 s[0:1], s[0:1], 0x0
	v_sub_nc_u32_e32 v5, v1, v2
	v_lshrrev_b32_e32 v5, 1, v5
	v_add_nc_u32_e32 v2, v5, v2
	s_waitcnt lgkmcnt(0)
	v_cmp_gt_u64_e32 vcc_lo, s[4:5], v[9:10]
	v_lshrrev_b32_e32 v2, 2, v2
	v_mul_lo_u32 v5, s0, v10
	v_mul_lo_u32 v7, s1, v9
	;; [unrolled: 1-line block ×3, first 2 shown]
	v_mad_u64_u32 v[2:3], null, s0, v9, v[3:4]
	v_mul_u32_u24_e32 v4, 34, v8
	v_sub_nc_u32_e32 v76, v0, v4
	v_sub_nc_u32_e32 v1, v1, v6
	v_add3_u32 v3, v7, v3, v5
	v_mul_u32_u24_e32 v11, 0x1ff, v1
	v_lshlrev_b64 v[78:79], 4, v[2:3]
	v_lshlrev_b32_e32 v208, 4, v11
	s_and_saveexec_b32 s1, vcc_lo
	s_cbranch_execz .LBB0_12
; %bb.9:
	v_mov_b32_e32 v77, 0
	v_add_co_u32 v0, s0, s2, v78
	v_add_co_ci_u32_e64 v1, s0, s3, v79, s0
	v_lshlrev_b64 v[2:3], 4, v[76:77]
	s_mov_b32 s4, exec_lo
	v_add_co_u32 v20, s0, v0, v2
	v_add_co_ci_u32_e64 v21, s0, v1, v3, s0
	v_lshlrev_b32_e32 v2, 4, v76
	v_add_co_u32 v32, s0, 0x800, v20
	v_add_co_ci_u32_e64 v33, s0, 0, v21, s0
	v_add_co_u32 v48, s0, 0x1000, v20
	v_add_co_ci_u32_e64 v49, s0, 0, v21, s0
	v_add_co_u32 v60, s0, 0x1800, v20
	v_add_co_ci_u32_e64 v61, s0, 0, v21, s0
	s_clause 0xe
	global_load_dwordx4 v[3:6], v[20:21], off
	global_load_dwordx4 v[7:10], v[20:21], off offset:544
	global_load_dwordx4 v[12:15], v[20:21], off offset:1088
	;; [unrolled: 1-line block ×14, first 2 shown]
	v_add3_u32 v2, 0, v208, v2
	s_waitcnt vmcnt(14)
	ds_write_b128 v2, v[3:6]
	s_waitcnt vmcnt(13)
	ds_write_b128 v2, v[7:10] offset:544
	s_waitcnt vmcnt(12)
	ds_write_b128 v2, v[12:15] offset:1088
	;; [unrolled: 2-line block ×14, first 2 shown]
	v_cmpx_eq_u32_e32 33, v76
	s_cbranch_execz .LBB0_11
; %bb.10:
	v_add_co_u32 v0, s0, 0x1800, v0
	v_add_co_ci_u32_e64 v1, s0, 0, v1, s0
	v_mov_b32_e32 v76, 33
	global_load_dwordx4 v[3:6], v[0:1], off offset:2016
	s_waitcnt vmcnt(0)
	ds_write_b128 v2, v[3:6] offset:7632
.LBB0_11:
	s_or_b32 exec_lo, exec_lo, s4
.LBB0_12:
	s_or_b32 exec_lo, exec_lo, s1
	v_lshl_add_u32 v209, v11, 4, 0
	v_lshlrev_b32_e32 v0, 4, v76
	s_waitcnt lgkmcnt(0)
	s_barrier
	buffer_gl0_inv
	s_add_u32 s1, s8, 0x1ed0
	v_add_nc_u32_e32 v210, v209, v0
	v_sub_nc_u32_e32 v10, v209, v0
	s_addc_u32 s4, s9, 0
	s_mov_b32 s5, exec_lo
	ds_read_b64 v[6:7], v210
	ds_read_b64 v[8:9], v10 offset:8160
                                        ; implicit-def: $vgpr4_vgpr5
	s_waitcnt lgkmcnt(0)
	v_add_f64 v[0:1], v[6:7], v[8:9]
	v_add_f64 v[2:3], v[6:7], -v[8:9]
	v_cmpx_ne_u32_e32 0, v76
	s_xor_b32 s5, exec_lo, s5
	s_cbranch_execz .LBB0_14
; %bb.13:
	v_mov_b32_e32 v77, 0
	v_add_f64 v[14:15], v[6:7], v[8:9]
	v_add_f64 v[16:17], v[6:7], -v[8:9]
	v_lshlrev_b64 v[0:1], 4, v[76:77]
	v_add_co_u32 v0, s0, s1, v0
	v_add_co_ci_u32_e64 v1, s0, s4, v1, s0
	global_load_dwordx4 v[2:5], v[0:1], off
	ds_read_b64 v[0:1], v10 offset:8168
	ds_read_b64 v[12:13], v210 offset:8
	s_waitcnt lgkmcnt(0)
	v_add_f64 v[6:7], v[0:1], v[12:13]
	v_add_f64 v[0:1], v[12:13], -v[0:1]
	s_waitcnt vmcnt(0)
	v_fma_f64 v[8:9], v[16:17], v[4:5], v[14:15]
	v_fma_f64 v[12:13], -v[16:17], v[4:5], v[14:15]
	v_fma_f64 v[14:15], v[6:7], v[4:5], -v[0:1]
	v_fma_f64 v[4:5], v[6:7], v[4:5], v[0:1]
	v_fma_f64 v[0:1], -v[6:7], v[2:3], v[8:9]
	v_fma_f64 v[6:7], v[6:7], v[2:3], v[12:13]
	v_fma_f64 v[8:9], v[16:17], v[2:3], v[14:15]
	;; [unrolled: 1-line block ×3, first 2 shown]
	v_mov_b32_e32 v4, v76
	v_mov_b32_e32 v5, v77
	ds_write_b128 v10, v[6:9] offset:8160
.LBB0_14:
	s_andn2_saveexec_b32 s0, s5
	s_cbranch_execz .LBB0_16
; %bb.15:
	ds_read_b128 v[4:7], v209 offset:4080
	s_waitcnt lgkmcnt(0)
	v_add_f64 v[12:13], v[4:5], v[4:5]
	v_mul_f64 v[14:15], v[6:7], -2.0
	v_mov_b32_e32 v4, 0
	v_mov_b32_e32 v5, 0
	ds_write_b128 v209, v[12:15] offset:4080
.LBB0_16:
	s_or_b32 exec_lo, exec_lo, s0
	v_lshlrev_b64 v[4:5], 4, v[4:5]
	v_add_co_u32 v8, s0, s1, v4
	v_add_co_ci_u32_e64 v9, s0, s4, v5, s0
	s_clause 0x2
	global_load_dwordx4 v[4:7], v[8:9], off offset:544
	global_load_dwordx4 v[12:15], v[8:9], off offset:1088
	;; [unrolled: 1-line block ×3, first 2 shown]
	ds_write_b128 v210, v[0:3]
	v_add_co_u32 v0, s0, 0x800, v8
	v_add_co_ci_u32_e64 v1, s0, 0, v9, s0
	ds_read_b128 v[20:23], v210 offset:544
	ds_read_b128 v[24:27], v10 offset:7616
	v_cmp_gt_u32_e64 s0, 17, v76
	global_load_dwordx4 v[28:31], v[0:1], off offset:128
	s_waitcnt lgkmcnt(0)
	v_add_f64 v[2:3], v[20:21], v[24:25]
	v_add_f64 v[32:33], v[26:27], v[22:23]
	v_add_f64 v[20:21], v[20:21], -v[24:25]
	v_add_f64 v[8:9], v[22:23], -v[26:27]
	s_waitcnt vmcnt(3)
	v_fma_f64 v[22:23], v[20:21], v[6:7], v[2:3]
	v_fma_f64 v[24:25], v[32:33], v[6:7], v[8:9]
	v_fma_f64 v[2:3], -v[20:21], v[6:7], v[2:3]
	v_fma_f64 v[26:27], v[32:33], v[6:7], -v[8:9]
	v_fma_f64 v[6:7], -v[32:33], v[4:5], v[22:23]
	v_fma_f64 v[8:9], v[20:21], v[4:5], v[24:25]
	v_fma_f64 v[2:3], v[32:33], v[4:5], v[2:3]
	v_fma_f64 v[4:5], v[20:21], v[4:5], v[26:27]
	ds_write_b128 v210, v[6:9] offset:544
	ds_write_b128 v10, v[2:5] offset:7616
	ds_read_b128 v[2:5], v210 offset:1088
	ds_read_b128 v[6:9], v10 offset:7072
	global_load_dwordx4 v[20:23], v[0:1], off offset:672
	s_waitcnt lgkmcnt(0)
	v_add_f64 v[24:25], v[2:3], v[6:7]
	v_add_f64 v[26:27], v[8:9], v[4:5]
	v_add_f64 v[32:33], v[2:3], -v[6:7]
	v_add_f64 v[2:3], v[4:5], -v[8:9]
	s_waitcnt vmcnt(3)
	v_fma_f64 v[4:5], v[32:33], v[14:15], v[24:25]
	v_fma_f64 v[6:7], v[26:27], v[14:15], v[2:3]
	v_fma_f64 v[8:9], -v[32:33], v[14:15], v[24:25]
	v_fma_f64 v[14:15], v[26:27], v[14:15], -v[2:3]
	v_fma_f64 v[2:3], -v[26:27], v[12:13], v[4:5]
	v_fma_f64 v[4:5], v[32:33], v[12:13], v[6:7]
	v_fma_f64 v[6:7], v[26:27], v[12:13], v[8:9]
	v_fma_f64 v[8:9], v[32:33], v[12:13], v[14:15]
	ds_write_b128 v210, v[2:5] offset:1088
	ds_write_b128 v10, v[6:9] offset:7072
	ds_read_b128 v[2:5], v210 offset:1632
	ds_read_b128 v[6:9], v10 offset:6528
	;; [unrolled: 19-line block ×3, first 2 shown]
	s_waitcnt lgkmcnt(0)
	v_add_f64 v[16:17], v[2:3], v[6:7]
	v_add_f64 v[18:19], v[8:9], v[4:5]
	v_add_f64 v[24:25], v[2:3], -v[6:7]
	v_add_f64 v[2:3], v[4:5], -v[8:9]
	s_waitcnt vmcnt(2)
	v_fma_f64 v[4:5], v[24:25], v[30:31], v[16:17]
	v_fma_f64 v[6:7], v[18:19], v[30:31], v[2:3]
	v_fma_f64 v[8:9], -v[24:25], v[30:31], v[16:17]
	v_fma_f64 v[16:17], v[18:19], v[30:31], -v[2:3]
	v_fma_f64 v[2:3], -v[18:19], v[28:29], v[4:5]
	v_fma_f64 v[4:5], v[24:25], v[28:29], v[6:7]
	v_fma_f64 v[6:7], v[18:19], v[28:29], v[8:9]
	;; [unrolled: 1-line block ×3, first 2 shown]
	ds_write_b128 v210, v[2:5] offset:2176
	ds_write_b128 v10, v[6:9] offset:5984
	ds_read_b128 v[2:5], v210 offset:2720
	ds_read_b128 v[6:9], v10 offset:5440
	s_waitcnt lgkmcnt(0)
	v_add_f64 v[16:17], v[2:3], v[6:7]
	v_add_f64 v[18:19], v[8:9], v[4:5]
	v_add_f64 v[24:25], v[2:3], -v[6:7]
	v_add_f64 v[2:3], v[4:5], -v[8:9]
	s_waitcnt vmcnt(1)
	v_fma_f64 v[4:5], v[24:25], v[22:23], v[16:17]
	v_fma_f64 v[6:7], v[18:19], v[22:23], v[2:3]
	v_fma_f64 v[8:9], -v[24:25], v[22:23], v[16:17]
	v_fma_f64 v[16:17], v[18:19], v[22:23], -v[2:3]
	v_fma_f64 v[2:3], -v[18:19], v[20:21], v[4:5]
	v_fma_f64 v[4:5], v[24:25], v[20:21], v[6:7]
	v_fma_f64 v[6:7], v[18:19], v[20:21], v[8:9]
	;; [unrolled: 1-line block ×3, first 2 shown]
	ds_write_b128 v210, v[2:5] offset:2720
	ds_write_b128 v10, v[6:9] offset:5440
	ds_read_b128 v[2:5], v210 offset:3264
	ds_read_b128 v[6:9], v10 offset:4896
	s_waitcnt lgkmcnt(0)
	v_add_f64 v[16:17], v[2:3], v[6:7]
	v_add_f64 v[18:19], v[8:9], v[4:5]
	v_add_f64 v[20:21], v[2:3], -v[6:7]
	v_add_f64 v[2:3], v[4:5], -v[8:9]
	s_waitcnt vmcnt(0)
	v_fma_f64 v[4:5], v[20:21], v[14:15], v[16:17]
	v_fma_f64 v[6:7], v[18:19], v[14:15], v[2:3]
	v_fma_f64 v[8:9], -v[20:21], v[14:15], v[16:17]
	v_fma_f64 v[14:15], v[18:19], v[14:15], -v[2:3]
	v_fma_f64 v[2:3], -v[18:19], v[12:13], v[4:5]
	v_fma_f64 v[4:5], v[20:21], v[12:13], v[6:7]
	v_fma_f64 v[6:7], v[18:19], v[12:13], v[8:9]
	;; [unrolled: 1-line block ×3, first 2 shown]
	ds_write_b128 v210, v[2:5] offset:3264
	ds_write_b128 v10, v[6:9] offset:4896
	s_and_saveexec_b32 s1, s0
	s_cbranch_execz .LBB0_18
; %bb.17:
	global_load_dwordx4 v[0:3], v[0:1], off offset:1760
	ds_read_b128 v[4:7], v210 offset:3808
	ds_read_b128 v[12:15], v10 offset:4352
	s_waitcnt lgkmcnt(0)
	v_add_f64 v[8:9], v[4:5], v[12:13]
	v_add_f64 v[16:17], v[14:15], v[6:7]
	v_add_f64 v[12:13], v[4:5], -v[12:13]
	v_add_f64 v[4:5], v[6:7], -v[14:15]
	s_waitcnt vmcnt(0)
	v_fma_f64 v[6:7], v[12:13], v[2:3], v[8:9]
	v_fma_f64 v[14:15], v[16:17], v[2:3], v[4:5]
	v_fma_f64 v[8:9], -v[12:13], v[2:3], v[8:9]
	v_fma_f64 v[18:19], v[16:17], v[2:3], -v[4:5]
	v_fma_f64 v[2:3], -v[16:17], v[0:1], v[6:7]
	v_fma_f64 v[4:5], v[12:13], v[0:1], v[14:15]
	v_fma_f64 v[6:7], v[16:17], v[0:1], v[8:9]
	;; [unrolled: 1-line block ×3, first 2 shown]
	ds_write_b128 v210, v[2:5] offset:3808
	ds_write_b128 v10, v[6:9] offset:4352
.LBB0_18:
	s_or_b32 exec_lo, exec_lo, s1
	v_lshl_add_u32 v211, v76, 4, 0
	s_waitcnt lgkmcnt(0)
	s_barrier
	buffer_gl0_inv
	v_lshl_add_u32 v77, v11, 4, v211
	s_barrier
	buffer_gl0_inv
	s_mov_b32 s6, 0x2a9d6da3
	s_mov_b32 s14, 0x7c9e640b
	ds_read_b128 v[12:15], v77 offset:7680
	ds_read_b128 v[40:43], v77 offset:480
	;; [unrolled: 1-line block ×4, first 2 shown]
	ds_read_b128 v[8:11], v210
	s_mov_b32 s7, 0xbfe58eea
	s_mov_b32 s15, 0xbfeca52d
	ds_read_b128 v[44:47], v77 offset:1440
	ds_read_b128 v[20:23], v77 offset:6720
	s_mov_b32 s4, 0x75d4884
	s_mov_b32 s10, 0xeb564b22
	;; [unrolled: 1-line block ×8, first 2 shown]
	ds_read_b128 v[24:27], v77 offset:6240
	ds_read_b128 v[72:75], v77 offset:1920
	s_mov_b32 s16, 0x3259b75e
	s_mov_b32 s12, 0x6ed5f1bb
	;; [unrolled: 1-line block ×3, first 2 shown]
	s_waitcnt lgkmcnt(7)
	v_add_f64 v[140:141], v[42:43], -v[14:15]
	v_add_f64 v[142:143], v[40:41], -v[12:13]
	s_waitcnt lgkmcnt(5)
	v_add_f64 v[94:95], v[38:39], -v[18:19]
	v_add_f64 v[80:81], v[36:37], -v[16:17]
	v_add_f64 v[196:197], v[40:41], v[12:13]
	v_add_f64 v[198:199], v[42:43], v[14:15]
	;; [unrolled: 1-line block ×3, first 2 shown]
	s_waitcnt lgkmcnt(2)
	v_add_f64 v[108:109], v[46:47], -v[22:23]
	v_add_f64 v[84:85], v[44:45], -v[20:21]
	v_add_f64 v[114:115], v[38:39], v[18:19]
	s_mov_b32 s17, 0x3fb79ee6
	s_mov_b32 s13, 0xbfe348c8
	;; [unrolled: 1-line block ×3, first 2 shown]
	v_add_f64 v[86:87], v[44:45], v[20:21]
	v_add_f64 v[116:117], v[46:47], v[22:23]
	ds_read_b128 v[60:63], v77 offset:2400
	ds_read_b128 v[28:31], v77 offset:5760
	s_waitcnt lgkmcnt(2)
	v_add_f64 v[112:113], v[74:75], -v[26:27]
	v_add_f64 v[88:89], v[72:73], -v[24:25]
	s_mov_b32 s18, 0x7faef3
	s_mov_b32 s28, 0x923c349f
	s_mov_b32 s19, 0xbfef7484
	s_mov_b32 s41, 0xbfc7851a
	v_mul_f64 v[200:201], v[140:141], s[6:7]
	v_mul_f64 v[202:203], v[142:143], s[6:7]
	;; [unrolled: 1-line block ×12, first 2 shown]
	s_mov_b32 s29, 0x3feec746
	s_mov_b32 s40, s22
	v_add_f64 v[90:91], v[72:73], v[24:25]
	v_add_f64 v[120:121], v[74:75], v[26:27]
	s_waitcnt lgkmcnt(0)
	v_add_f64 v[118:119], v[62:63], -v[30:31]
	v_add_f64 v[92:93], v[60:61], -v[28:29]
	v_mul_f64 v[166:167], v[112:113], s[40:41]
	v_mul_f64 v[170:171], v[88:89], s[40:41]
	;; [unrolled: 1-line block ×4, first 2 shown]
	v_fma_f64 v[0:1], v[196:197], s[4:5], v[200:201]
	v_fma_f64 v[2:3], v[198:199], s[4:5], -v[202:203]
	v_fma_f64 v[4:5], v[196:197], s[20:21], v[204:205]
	v_fma_f64 v[6:7], v[198:199], s[20:21], -v[206:207]
	;; [unrolled: 2-line block ×6, first 2 shown]
	ds_read_b128 v[32:35], v77 offset:5280
	ds_read_b128 v[68:71], v77 offset:2880
	s_mov_b32 s26, 0x4363dd80
	s_mov_b32 s30, 0xc61f0d01
	;; [unrolled: 1-line block ×6, first 2 shown]
	v_add_f64 v[96:97], v[60:61], v[28:29]
	v_add_f64 v[124:125], v[62:63], v[30:31]
	;; [unrolled: 1-line block ×6, first 2 shown]
	v_mul_f64 v[176:177], v[118:119], s[26:27]
	v_mul_f64 v[178:179], v[92:93], s[26:27]
	;; [unrolled: 1-line block ×4, first 2 shown]
	v_fma_f64 v[104:105], v[90:91], s[18:19], v[166:167]
	v_fma_f64 v[106:107], v[120:121], s[18:19], -v[170:171]
	v_fma_f64 v[110:111], v[90:91], s[30:31], v[148:149]
	s_waitcnt lgkmcnt(0)
	v_add_f64 v[122:123], v[70:71], -v[34:35]
	v_add_f64 v[98:99], v[68:69], -v[32:33]
	v_fma_f64 v[130:131], v[120:121], s[30:31], -v[152:153]
	s_mov_b32 s36, 0x910ea3b9
	s_mov_b32 s42, 0x5d8e7cdc
	;; [unrolled: 1-line block ×4, first 2 shown]
	v_add_f64 v[128:129], v[70:71], v[34:35]
	s_mov_b32 s44, 0x370991
	s_mov_b32 s39, 0x3feca52d
	;; [unrolled: 1-line block ×3, first 2 shown]
	v_add_f64 v[0:1], v[48:49], v[0:1]
	v_add_f64 v[2:3], v[50:51], v[2:3]
	;; [unrolled: 1-line block ×4, first 2 shown]
	ds_read_b128 v[64:67], v77 offset:3360
	ds_read_b128 v[48:51], v77 offset:4800
	v_fma_f64 v[134:135], v[96:97], s[36:37], v[176:177]
	v_fma_f64 v[180:181], v[124:125], s[36:37], -v[178:179]
	v_fma_f64 v[182:183], v[96:97], s[4:5], v[156:157]
	v_fma_f64 v[192:193], v[124:125], s[4:5], -v[162:163]
	s_mov_b32 s38, s14
	s_mov_b32 s47, 0x3fd71e95
	v_mul_f64 v[184:185], v[122:123], s[28:29]
	v_mul_f64 v[186:187], v[98:99], s[28:29]
	;; [unrolled: 1-line block ×4, first 2 shown]
	s_mov_b32 s49, 0xbfe0d888
	s_mov_b32 s46, s42
	;; [unrolled: 1-line block ×3, first 2 shown]
	s_mov_b32 s33, exec_lo
	v_add_f64 v[0:1], v[56:57], v[0:1]
	v_add_f64 v[2:3], v[58:59], v[2:3]
	;; [unrolled: 1-line block ×5, first 2 shown]
	s_waitcnt lgkmcnt(0)
	v_add_f64 v[126:127], v[66:67], -v[50:51]
	v_add_f64 v[102:103], v[64:65], -v[48:49]
	ds_read_b128 v[56:59], v77 offset:3840
	ds_read_b128 v[52:55], v77 offset:4320
	v_add_f64 v[132:133], v[66:67], v[50:51]
	s_waitcnt lgkmcnt(0)
	s_barrier
	buffer_gl0_inv
	v_fma_f64 v[214:215], v[128:129], s[30:31], -v[186:187]
	v_fma_f64 v[218:219], v[128:129], s[44:45], -v[168:169]
	v_add_f64 v[0:1], v[104:105], v[0:1]
	v_add_f64 v[2:3], v[106:107], v[2:3]
	;; [unrolled: 1-line block ×5, first 2 shown]
	v_add_f64 v[130:131], v[58:59], -v[54:55]
	v_add_f64 v[106:107], v[56:57], -v[52:53]
	v_mul_f64 v[188:189], v[126:127], s[38:39]
	v_mul_f64 v[190:191], v[102:103], s[38:39]
	;; [unrolled: 1-line block ×4, first 2 shown]
	v_fma_f64 v[212:213], v[100:101], s[30:31], v[184:185]
	v_fma_f64 v[216:217], v[100:101], s[44:45], v[164:165]
	v_add_f64 v[110:111], v[56:57], v[52:53]
	v_add_f64 v[0:1], v[134:135], v[0:1]
	;; [unrolled: 1-line block ×6, first 2 shown]
	v_mul_f64 v[192:193], v[130:131], s[46:47]
	v_mul_f64 v[194:195], v[106:107], s[46:47]
	v_mul_f64 v[180:181], v[130:131], s[48:49]
	v_mul_f64 v[182:183], v[106:107], s[48:49]
	v_fma_f64 v[220:221], v[104:105], s[20:21], v[188:189]
	v_fma_f64 v[222:223], v[132:133], s[20:21], -v[190:191]
	v_fma_f64 v[224:225], v[104:105], s[16:17], v[172:173]
	v_fma_f64 v[226:227], v[132:133], s[16:17], -v[174:175]
	v_add_f64 v[0:1], v[212:213], v[0:1]
	v_add_f64 v[2:3], v[214:215], v[2:3]
	;; [unrolled: 1-line block ×4, first 2 shown]
	v_fma_f64 v[212:213], v[110:111], s[44:45], v[192:193]
	v_fma_f64 v[214:215], v[134:135], s[44:45], -v[194:195]
	v_fma_f64 v[216:217], v[110:111], s[36:37], v[180:181]
	v_fma_f64 v[218:219], v[134:135], s[36:37], -v[182:183]
	v_add_f64 v[0:1], v[220:221], v[0:1]
	v_add_f64 v[2:3], v[222:223], v[2:3]
	;; [unrolled: 1-line block ×8, first 2 shown]
	v_cmpx_gt_u32_e32 30, v76
	s_cbranch_execz .LBB0_20
; %bb.19:
	v_add_f64 v[40:41], v[8:9], v[40:41]
	v_add_f64 v[42:43], v[10:11], v[42:43]
	s_mov_b32 s53, 0x3fefdd0d
	s_mov_b32 s55, 0xbfeec746
	;; [unrolled: 1-line block ×6, first 2 shown]
	v_mul_f64 v[214:215], v[134:135], s[16:17]
	v_mul_f64 v[216:217], v[130:131], s[52:53]
	;; [unrolled: 1-line block ×9, first 2 shown]
	v_add_f64 v[36:37], v[40:41], v[36:37]
	v_add_f64 v[38:39], v[42:43], v[38:39]
	v_add_f64 v[36:37], v[36:37], v[44:45]
	v_add_f64 v[38:39], v[38:39], v[46:47]
	v_add_f64 v[36:37], v[36:37], v[72:73]
	v_add_f64 v[38:39], v[38:39], v[74:75]
	v_add_f64 v[36:37], v[36:37], v[60:61]
	v_add_f64 v[38:39], v[38:39], v[62:63]
	v_add_f64 v[36:37], v[36:37], v[68:69]
	v_add_f64 v[38:39], v[38:39], v[70:71]
	v_add_f64 v[36:37], v[36:37], v[64:65]
	v_add_f64 v[38:39], v[38:39], v[66:67]
	v_add_f64 v[36:37], v[36:37], v[56:57]
	v_add_f64 v[38:39], v[38:39], v[58:59]
	v_mul_f64 v[56:57], v[140:141], s[42:43]
	v_mul_f64 v[58:59], v[140:141], s[54:55]
	v_add_f64 v[36:37], v[36:37], v[52:53]
	v_add_f64 v[38:39], v[38:39], v[54:55]
	v_mul_f64 v[52:53], v[140:141], s[24:25]
	v_mul_f64 v[54:55], v[140:141], s[10:11]
	v_fma_f64 v[68:69], v[196:197], s[44:45], v[56:57]
	v_fma_f64 v[56:57], v[196:197], s[44:45], -v[56:57]
	v_fma_f64 v[70:71], v[196:197], s[30:31], v[58:59]
	v_fma_f64 v[58:59], v[196:197], s[30:31], -v[58:59]
	v_add_f64 v[36:37], v[36:37], v[48:49]
	v_add_f64 v[38:39], v[38:39], v[50:51]
	v_mul_f64 v[48:49], v[140:141], s[40:41]
	v_mul_f64 v[50:51], v[140:141], s[48:49]
	v_fma_f64 v[64:65], v[196:197], s[12:13], v[52:53]
	v_fma_f64 v[52:53], v[196:197], s[12:13], -v[52:53]
	v_fma_f64 v[66:67], v[196:197], s[16:17], v[54:55]
	v_fma_f64 v[54:55], v[196:197], s[16:17], -v[54:55]
	v_add_f64 v[68:69], v[8:9], v[68:69]
	v_add_f64 v[32:33], v[36:37], v[32:33]
	;; [unrolled: 1-line block ×3, first 2 shown]
	v_fma_f64 v[60:61], v[196:197], s[18:19], v[48:49]
	v_fma_f64 v[48:49], v[196:197], s[18:19], -v[48:49]
	v_fma_f64 v[62:63], v[196:197], s[36:37], v[50:51]
	v_fma_f64 v[50:51], v[196:197], s[36:37], -v[50:51]
	v_add_f64 v[64:65], v[8:9], v[64:65]
	v_add_f64 v[52:53], v[8:9], v[52:53]
	;; [unrolled: 1-line block ×5, first 2 shown]
	v_mul_f64 v[32:33], v[198:199], s[16:17]
	v_mul_f64 v[34:35], v[198:199], s[44:45]
	v_add_f64 v[60:61], v[8:9], v[60:61]
	v_add_f64 v[48:49], v[8:9], v[48:49]
	;; [unrolled: 1-line block ×6, first 2 shown]
	v_mul_f64 v[28:29], v[198:199], s[12:13]
	v_mul_f64 v[30:31], v[198:199], s[30:31]
	v_fma_f64 v[44:45], v[142:143], s[52:53], v[32:33]
	v_fma_f64 v[32:33], v[142:143], s[10:11], v[32:33]
	v_fma_f64 v[46:47], v[142:143], s[46:47], v[34:35]
	v_fma_f64 v[34:35], v[142:143], s[42:43], v[34:35]
	v_add_f64 v[20:21], v[24:25], v[20:21]
	v_add_f64 v[22:23], v[26:27], v[22:23]
	v_mul_f64 v[24:25], v[198:199], s[18:19]
	v_mul_f64 v[26:27], v[198:199], s[36:37]
	v_fma_f64 v[40:41], v[142:143], s[50:51], v[28:29]
	v_fma_f64 v[42:43], v[142:143], s[28:29], v[30:31]
	v_fma_f64 v[30:31], v[142:143], s[54:55], v[30:31]
	v_fma_f64 v[28:29], v[142:143], s[24:25], v[28:29]
	v_add_f64 v[16:17], v[20:21], v[16:17]
	v_add_f64 v[18:19], v[22:23], v[18:19]
	;; [unrolled: 8-line block ×3, first 2 shown]
	v_add_f64 v[142:143], v[10:11], v[30:31]
	v_add_f64 v[40:41], v[10:11], v[32:33]
	v_add_f64 v[42:43], v[8:9], v[54:55]
	v_add_f64 v[30:31], v[8:9], v[56:57]
	v_add_f64 v[56:57], v[8:9], v[70:71]
	v_add_f64 v[74:75], v[10:11], v[28:29]
	v_add_f64 v[28:29], v[10:11], v[34:35]
	v_add_f64 v[12:13], v[16:17], v[12:13]
	v_mul_f64 v[16:17], v[198:199], s[20:21]
	v_add_f64 v[14:15], v[18:19], v[14:15]
	v_mul_f64 v[18:19], v[196:197], s[20:21]
	v_add_f64 v[20:21], v[202:203], v[20:21]
	v_add_f64 v[22:23], v[22:23], -v[200:201]
	v_add_f64 v[196:197], v[10:11], v[44:45]
	v_add_f64 v[36:37], v[10:11], v[36:37]
	;; [unrolled: 1-line block ×8, first 2 shown]
	v_add_f64 v[18:19], v[18:19], -v[204:205]
	v_add_f64 v[32:33], v[10:11], v[20:21]
	v_add_f64 v[198:199], v[8:9], v[22:23]
	v_mul_f64 v[20:21], v[116:117], s[36:37]
	v_add_f64 v[44:45], v[10:11], v[16:17]
	v_mul_f64 v[16:17], v[114:115], s[44:45]
	v_add_f64 v[54:55], v[8:9], v[18:19]
	v_mul_f64 v[18:19], v[94:95], s[46:47]
	v_fma_f64 v[22:23], v[84:85], s[26:27], v[20:21]
	v_fma_f64 v[20:21], v[84:85], s[48:49], v[20:21]
	;; [unrolled: 1-line block ×5, first 2 shown]
	v_fma_f64 v[18:19], v[82:83], s[44:45], -v[18:19]
	v_add_f64 v[8:9], v[8:9], v[36:37]
	v_add_f64 v[16:17], v[16:17], v[24:25]
	;; [unrolled: 1-line block ×4, first 2 shown]
	v_mul_f64 v[24:25], v[114:115], s[20:21]
	v_add_f64 v[8:9], v[22:23], v[8:9]
	v_mul_f64 v[22:23], v[108:109], s[48:49]
	v_add_f64 v[16:17], v[20:21], v[16:17]
	v_fma_f64 v[34:35], v[86:87], s[36:37], v[22:23]
	v_fma_f64 v[20:21], v[86:87], s[36:37], -v[22:23]
	v_fma_f64 v[22:23], v[110:111], s[16:17], -v[216:217]
	v_add_f64 v[10:11], v[34:35], v[10:11]
	v_mul_f64 v[34:35], v[120:121], s[4:5]
	v_add_f64 v[18:19], v[20:21], v[18:19]
	v_fma_f64 v[36:37], v[88:89], s[6:7], v[34:35]
	v_fma_f64 v[20:21], v[88:89], s[34:35], v[34:35]
	v_mul_f64 v[34:35], v[94:95], s[38:39]
	v_add_f64 v[8:9], v[36:37], v[8:9]
	v_mul_f64 v[36:37], v[112:113], s[34:35]
	v_add_f64 v[16:17], v[20:21], v[16:17]
	v_fma_f64 v[58:59], v[90:91], s[4:5], v[36:37]
	v_fma_f64 v[20:21], v[90:91], s[4:5], -v[36:37]
	v_mul_f64 v[36:37], v[116:117], s[16:17]
	v_add_f64 v[10:11], v[58:59], v[10:11]
	v_mul_f64 v[58:59], v[124:125], s[12:13]
	v_add_f64 v[18:19], v[20:21], v[18:19]
	v_fma_f64 v[60:61], v[92:93], s[50:51], v[58:59]
	v_fma_f64 v[20:21], v[92:93], s[24:25], v[58:59]
	v_add_f64 v[8:9], v[60:61], v[8:9]
	v_mul_f64 v[60:61], v[118:119], s[24:25]
	v_add_f64 v[16:17], v[20:21], v[16:17]
	v_fma_f64 v[70:71], v[96:97], s[12:13], v[60:61]
	v_fma_f64 v[20:21], v[96:97], s[12:13], -v[60:61]
	v_add_f64 v[10:11], v[70:71], v[10:11]
	v_mul_f64 v[70:71], v[128:129], s[20:21]
	v_add_f64 v[18:19], v[20:21], v[18:19]
	v_fma_f64 v[202:203], v[98:99], s[14:15], v[70:71]
	v_fma_f64 v[20:21], v[98:99], s[38:39], v[70:71]
	v_add_f64 v[8:9], v[202:203], v[8:9]
	v_mul_f64 v[202:203], v[122:123], s[38:39]
	v_add_f64 v[16:17], v[20:21], v[16:17]
	v_fma_f64 v[204:205], v[100:101], s[20:21], v[202:203]
	v_fma_f64 v[20:21], v[100:101], s[20:21], -v[202:203]
	v_add_f64 v[10:11], v[204:205], v[10:11]
	v_mul_f64 v[204:205], v[132:133], s[30:31]
	v_add_f64 v[18:19], v[20:21], v[18:19]
	v_fma_f64 v[206:207], v[102:103], s[28:29], v[204:205]
	v_fma_f64 v[20:21], v[102:103], s[54:55], v[204:205]
	v_add_f64 v[8:9], v[206:207], v[8:9]
	v_mul_f64 v[206:207], v[126:127], s[54:55]
	v_add_f64 v[16:17], v[20:21], v[16:17]
	v_fma_f64 v[20:21], v[104:105], s[30:31], -v[206:207]
	v_fma_f64 v[212:213], v[104:105], s[30:31], v[206:207]
	v_add_f64 v[20:21], v[20:21], v[18:19]
	v_fma_f64 v[18:19], v[106:107], s[52:53], v[214:215]
	v_add_f64 v[212:213], v[212:213], v[10:11]
	v_fma_f64 v[10:11], v[106:107], s[10:11], v[214:215]
	v_mul_f64 v[214:215], v[134:135], s[30:31]
	v_add_f64 v[18:19], v[18:19], v[16:17]
	v_add_f64 v[16:17], v[22:23], v[20:21]
	v_fma_f64 v[20:21], v[80:81], s[14:15], v[24:25]
	v_fma_f64 v[22:23], v[82:83], s[20:21], v[34:35]
	;; [unrolled: 1-line block ×3, first 2 shown]
	v_add_f64 v[10:11], v[10:11], v[8:9]
	v_fma_f64 v[8:9], v[110:111], s[16:17], v[216:217]
	v_mul_f64 v[216:217], v[130:131], s[54:55]
	v_add_f64 v[20:21], v[20:21], v[38:39]
	v_fma_f64 v[38:39], v[84:85], s[52:53], v[36:37]
	v_add_f64 v[22:23], v[22:23], v[62:63]
	v_add_f64 v[24:25], v[24:25], v[26:27]
	v_fma_f64 v[26:27], v[82:83], s[20:21], -v[34:35]
	v_fma_f64 v[34:35], v[84:85], s[10:11], v[36:37]
	v_fma_f64 v[36:37], v[110:111], s[30:31], -v[216:217]
	v_add_f64 v[8:9], v[8:9], v[212:213]
	v_add_f64 v[20:21], v[38:39], v[20:21]
	v_mul_f64 v[38:39], v[108:109], s[10:11]
	v_add_f64 v[26:27], v[26:27], v[50:51]
	v_add_f64 v[24:25], v[34:35], v[24:25]
	v_mul_f64 v[50:51], v[120:121], s[18:19]
	v_fma_f64 v[48:49], v[86:87], s[16:17], v[38:39]
	v_fma_f64 v[34:35], v[86:87], s[16:17], -v[38:39]
	v_mul_f64 v[38:39], v[116:117], s[12:13]
	v_add_f64 v[50:51], v[170:171], v[50:51]
	v_mul_f64 v[170:171], v[124:125], s[18:19]
	v_add_f64 v[22:23], v[48:49], v[22:23]
	;; [unrolled: 2-line block ×3, first 2 shown]
	v_add_f64 v[38:39], v[160:161], v[38:39]
	v_mul_f64 v[160:161], v[134:135], s[4:5]
	v_fma_f64 v[58:59], v[88:89], s[24:25], v[48:49]
	v_fma_f64 v[34:35], v[88:89], s[50:51], v[48:49]
	v_mul_f64 v[48:49], v[86:87], s[12:13]
	v_add_f64 v[20:21], v[58:59], v[20:21]
	v_mul_f64 v[58:59], v[112:113], s[50:51]
	v_add_f64 v[24:25], v[34:35], v[24:25]
	v_add_f64 v[48:49], v[48:49], -v[158:159]
	v_mul_f64 v[158:159], v[126:127], s[50:51]
	v_fma_f64 v[60:61], v[90:91], s[12:13], v[58:59]
	v_fma_f64 v[34:35], v[90:91], s[12:13], -v[58:59]
	v_mul_f64 v[58:59], v[90:91], s[18:19]
	v_add_f64 v[22:23], v[60:61], v[22:23]
	v_mul_f64 v[60:61], v[124:125], s[44:45]
	v_add_f64 v[26:27], v[34:35], v[26:27]
	v_add_f64 v[58:59], v[58:59], -v[166:167]
	v_mul_f64 v[166:167], v[120:121], s[20:21]
	v_fma_f64 v[62:63], v[92:93], s[46:47], v[60:61]
	v_fma_f64 v[34:35], v[92:93], s[42:43], v[60:61]
	v_mul_f64 v[60:61], v[124:125], s[36:37]
	v_add_f64 v[20:21], v[62:63], v[20:21]
	v_mul_f64 v[62:63], v[118:119], s[42:43]
	v_add_f64 v[24:25], v[34:35], v[24:25]
	v_add_f64 v[60:61], v[178:179], v[60:61]
	v_mul_f64 v[178:179], v[132:133], s[44:45]
	v_fma_f64 v[70:71], v[96:97], s[44:45], v[62:63]
	v_fma_f64 v[34:35], v[96:97], s[44:45], -v[62:63]
	v_mul_f64 v[62:63], v[96:97], s[36:37]
	v_add_f64 v[22:23], v[70:71], v[22:23]
	v_mul_f64 v[70:71], v[128:129], s[18:19]
	v_add_f64 v[26:27], v[34:35], v[26:27]
	v_add_f64 v[62:63], v[62:63], -v[176:177]
	v_mul_f64 v[176:177], v[118:119], s[40:41]
	v_fma_f64 v[202:203], v[98:99], s[22:23], v[70:71]
	v_fma_f64 v[34:35], v[98:99], s[40:41], v[70:71]
	v_mul_f64 v[70:71], v[114:115], s[4:5]
	v_add_f64 v[20:21], v[202:203], v[20:21]
	v_mul_f64 v[202:203], v[122:123], s[40:41]
	v_add_f64 v[24:25], v[34:35], v[24:25]
	v_fma_f64 v[204:205], v[100:101], s[18:19], v[202:203]
	v_fma_f64 v[34:35], v[100:101], s[18:19], -v[202:203]
	v_mul_f64 v[202:203], v[94:95], s[6:7]
	v_add_f64 v[22:23], v[204:205], v[22:23]
	v_mul_f64 v[204:205], v[132:133], s[4:5]
	v_add_f64 v[26:27], v[34:35], v[26:27]
	v_fma_f64 v[206:207], v[102:103], s[6:7], v[204:205]
	v_fma_f64 v[34:35], v[102:103], s[34:35], v[204:205]
	v_mul_f64 v[204:205], v[116:117], s[20:21]
	v_add_f64 v[20:21], v[206:207], v[20:21]
	v_mul_f64 v[206:207], v[126:127], s[34:35]
	v_add_f64 v[24:25], v[34:35], v[24:25]
	v_fma_f64 v[34:35], v[104:105], s[4:5], -v[206:207]
	v_fma_f64 v[212:213], v[104:105], s[4:5], v[206:207]
	v_mul_f64 v[206:207], v[108:109], s[14:15]
	v_add_f64 v[34:35], v[34:35], v[26:27]
	v_fma_f64 v[26:27], v[106:107], s[54:55], v[214:215]
	v_add_f64 v[212:213], v[212:213], v[22:23]
	v_fma_f64 v[22:23], v[106:107], s[28:29], v[214:215]
	v_mul_f64 v[214:215], v[112:113], s[10:11]
	v_add_f64 v[26:27], v[26:27], v[24:25]
	v_add_f64 v[24:25], v[36:37], v[34:35]
	v_fma_f64 v[34:35], v[80:81], s[6:7], v[70:71]
	v_add_f64 v[22:23], v[22:23], v[20:21]
	v_fma_f64 v[20:21], v[110:111], s[30:31], v[216:217]
	v_mul_f64 v[216:217], v[124:125], s[30:31]
	v_mul_f64 v[36:37], v[82:83], s[16:17]
	v_add_f64 v[28:29], v[34:35], v[28:29]
	v_fma_f64 v[34:35], v[82:83], s[4:5], -v[202:203]
	v_add_f64 v[20:21], v[20:21], v[212:213]
	v_mul_f64 v[212:213], v[120:121], s[16:17]
	v_add_f64 v[36:37], v[36:37], -v[150:151]
	v_mul_f64 v[150:151], v[128:129], s[30:31]
	v_add_f64 v[30:31], v[34:35], v[30:31]
	v_fma_f64 v[34:35], v[84:85], s[14:15], v[204:205]
	v_add_f64 v[150:151], v[186:187], v[150:151]
	v_mul_f64 v[186:187], v[130:131], s[24:25]
	v_add_f64 v[28:29], v[34:35], v[28:29]
	v_fma_f64 v[34:35], v[86:87], s[20:21], -v[206:207]
	v_add_f64 v[30:31], v[34:35], v[30:31]
	v_fma_f64 v[34:35], v[88:89], s[10:11], v[212:213]
	v_add_f64 v[28:29], v[34:35], v[28:29]
	v_fma_f64 v[34:35], v[90:91], s[16:17], -v[214:215]
	v_add_f64 v[30:31], v[34:35], v[30:31]
	v_fma_f64 v[34:35], v[92:93], s[54:55], v[216:217]
	;; [unrolled: 4-line block ×5, first 2 shown]
	v_add_f64 v[30:31], v[30:31], v[28:29]
	v_fma_f64 v[28:29], v[110:111], s[18:19], -v[230:231]
	v_add_f64 v[28:29], v[28:29], v[34:35]
	v_mul_f64 v[34:35], v[114:115], s[16:17]
	v_add_f64 v[34:35], v[154:155], v[34:35]
	v_mul_f64 v[154:155], v[122:123], s[48:49]
	v_add_f64 v[32:33], v[34:35], v[32:33]
	v_add_f64 v[34:35], v[36:37], v[198:199]
	v_mul_f64 v[36:37], v[100:101], s[30:31]
	v_add_f64 v[32:33], v[38:39], v[32:33]
	v_add_f64 v[34:35], v[48:49], v[34:35]
	v_add_f64 v[36:37], v[36:37], -v[184:185]
	v_mul_f64 v[38:39], v[132:133], s[20:21]
	v_mul_f64 v[48:49], v[104:105], s[20:21]
	;; [unrolled: 1-line block ×3, first 2 shown]
	v_add_f64 v[32:33], v[50:51], v[32:33]
	v_add_f64 v[34:35], v[58:59], v[34:35]
	v_mul_f64 v[50:51], v[134:135], s[44:45]
	v_add_f64 v[38:39], v[190:191], v[38:39]
	v_add_f64 v[48:49], v[48:49], -v[188:189]
	v_mul_f64 v[58:59], v[114:115], s[36:37]
	v_add_f64 v[32:33], v[60:61], v[32:33]
	v_add_f64 v[34:35], v[62:63], v[34:35]
	;; [unrolled: 1-line block ×3, first 2 shown]
	v_mul_f64 v[60:61], v[114:115], s[18:19]
	v_mul_f64 v[62:63], v[116:117], s[30:31]
	v_add_f64 v[32:33], v[150:151], v[32:33]
	v_add_f64 v[34:35], v[36:37], v[34:35]
	v_mul_f64 v[36:37], v[110:111], s[44:45]
	v_mul_f64 v[150:151], v[112:113], s[46:47]
	v_add_f64 v[32:33], v[38:39], v[32:33]
	v_add_f64 v[38:39], v[48:49], v[34:35]
	v_add_f64 v[36:37], v[36:37], -v[192:193]
	v_mul_f64 v[48:49], v[116:117], s[18:19]
	v_add_f64 v[34:35], v[50:51], v[32:33]
	v_mul_f64 v[50:51], v[120:121], s[30:31]
	v_add_f64 v[32:33], v[36:37], v[38:39]
	v_mul_f64 v[36:37], v[114:115], s[12:13]
	v_mul_f64 v[38:39], v[82:83], s[12:13]
	v_add_f64 v[48:49], v[146:147], v[48:49]
	v_mul_f64 v[146:147], v[94:95], s[40:41]
	v_add_f64 v[50:51], v[152:153], v[50:51]
	;; [unrolled: 2-line block ×3, first 2 shown]
	v_add_f64 v[38:39], v[38:39], -v[136:137]
	v_mul_f64 v[136:137], v[120:121], s[44:45]
	v_mul_f64 v[138:139], v[124:125], s[20:21]
	;; [unrolled: 1-line block ×3, first 2 shown]
	v_add_f64 v[36:37], v[36:37], v[44:45]
	v_mul_f64 v[44:45], v[86:87], s[18:19]
	v_add_f64 v[38:39], v[38:39], v[54:55]
	v_mul_f64 v[54:55], v[114:115], s[30:31]
	v_mul_f64 v[114:115], v[120:121], s[36:37]
	v_add_f64 v[36:37], v[48:49], v[36:37]
	v_add_f64 v[44:45], v[44:45], -v[144:145]
	v_mul_f64 v[48:49], v[90:91], s[30:31]
	v_mul_f64 v[144:145], v[128:129], s[36:37]
	v_add_f64 v[36:37], v[50:51], v[36:37]
	v_add_f64 v[38:39], v[44:45], v[38:39]
	v_mul_f64 v[44:45], v[124:125], s[4:5]
	v_add_f64 v[48:49], v[48:49], -v[148:149]
	v_mul_f64 v[50:51], v[96:97], s[4:5]
	v_mul_f64 v[148:149], v[108:109], s[28:29]
	v_add_f64 v[44:45], v[162:163], v[44:45]
	v_add_f64 v[38:39], v[48:49], v[38:39]
	v_add_f64 v[50:51], v[50:51], -v[156:157]
	v_mul_f64 v[48:49], v[128:129], s[44:45]
	v_mul_f64 v[156:157], v[132:133], s[12:13]
	;; [unrolled: 1-line block ×4, first 2 shown]
	v_add_f64 v[36:37], v[44:45], v[36:37]
	v_mul_f64 v[44:45], v[100:101], s[44:45]
	v_add_f64 v[38:39], v[50:51], v[38:39]
	v_add_f64 v[48:49], v[168:169], v[48:49]
	v_mul_f64 v[50:51], v[132:133], s[16:17]
	v_mul_f64 v[168:169], v[108:109], s[34:35]
	v_mul_f64 v[108:109], v[108:109], s[42:43]
	v_add_f64 v[44:45], v[44:45], -v[164:165]
	v_mul_f64 v[164:165], v[94:95], s[26:27]
	v_add_f64 v[36:37], v[48:49], v[36:37]
	v_add_f64 v[50:51], v[174:175], v[50:51]
	v_mul_f64 v[48:49], v[104:105], s[16:17]
	v_mul_f64 v[174:175], v[128:129], s[16:17]
	v_mul_f64 v[94:95], v[94:95], s[28:29]
	v_add_f64 v[38:39], v[44:45], v[38:39]
	v_mul_f64 v[44:45], v[134:135], s[36:37]
	v_add_f64 v[36:37], v[50:51], v[36:37]
	v_add_f64 v[48:49], v[48:49], -v[172:173]
	v_mul_f64 v[50:51], v[110:111], s[36:37]
	v_mul_f64 v[172:173], v[112:113], s[14:15]
	;; [unrolled: 1-line block ×3, first 2 shown]
	v_add_f64 v[44:45], v[182:183], v[44:45]
	v_mul_f64 v[182:183], v[126:127], s[42:43]
	v_add_f64 v[48:49], v[48:49], v[38:39]
	v_add_f64 v[50:51], v[50:51], -v[180:181]
	v_mul_f64 v[180:181], v[122:123], s[52:53]
	v_add_f64 v[38:39], v[44:45], v[36:37]
	v_fma_f64 v[44:45], v[80:81], s[40:41], v[60:61]
	v_fma_f64 v[60:61], v[80:81], s[22:23], v[60:61]
	v_add_f64 v[36:37], v[50:51], v[48:49]
	v_add_f64 v[40:41], v[44:45], v[40:41]
	v_fma_f64 v[44:45], v[84:85], s[28:29], v[62:63]
	v_add_f64 v[60:61], v[60:61], v[196:197]
	v_fma_f64 v[62:63], v[84:85], s[54:55], v[62:63]
	;; [unrolled: 2-line block ×6, first 2 shown]
	v_add_f64 v[40:41], v[44:45], v[40:41]
	v_fma_f64 v[44:45], v[82:83], s[18:19], -v[146:147]
	v_add_f64 v[42:43], v[44:45], v[42:43]
	v_fma_f64 v[44:45], v[86:87], s[30:31], -v[148:149]
	v_add_f64 v[42:43], v[44:45], v[42:43]
	v_fma_f64 v[44:45], v[90:91], s[44:45], -v[150:151]
	v_add_f64 v[42:43], v[44:45], v[42:43]
	v_fma_f64 v[44:45], v[96:97], s[20:21], -v[152:153]
	v_add_f64 v[42:43], v[44:45], v[42:43]
	v_fma_f64 v[44:45], v[100:101], s[36:37], -v[154:155]
	v_add_f64 v[42:43], v[44:45], v[42:43]
	v_fma_f64 v[44:45], v[102:103], s[50:51], v[156:157]
	v_add_f64 v[40:41], v[44:45], v[40:41]
	v_fma_f64 v[44:45], v[104:105], s[12:13], -v[158:159]
	v_add_f64 v[44:45], v[44:45], v[42:43]
	v_fma_f64 v[42:43], v[106:107], s[34:35], v[160:161]
	v_add_f64 v[42:43], v[42:43], v[40:41]
	v_fma_f64 v[40:41], v[110:111], s[4:5], -v[162:163]
	v_add_f64 v[40:41], v[40:41], v[44:45]
	v_fma_f64 v[44:45], v[80:81], s[26:27], v[58:59]
	v_fma_f64 v[58:59], v[80:81], s[48:49], v[58:59]
	v_add_f64 v[44:45], v[44:45], v[142:143]
	v_mul_f64 v[142:143], v[116:117], s[4:5]
	v_add_f64 v[58:59], v[58:59], v[140:141]
	v_fma_f64 v[48:49], v[84:85], s[34:35], v[142:143]
	v_add_f64 v[44:45], v[48:49], v[44:45]
	v_fma_f64 v[48:49], v[82:83], s[36:37], -v[164:165]
	v_add_f64 v[46:47], v[48:49], v[46:47]
	v_fma_f64 v[48:49], v[88:89], s[14:15], v[166:167]
	v_add_f64 v[44:45], v[48:49], v[44:45]
	v_fma_f64 v[48:49], v[86:87], s[4:5], -v[168:169]
	;; [unrolled: 4-line block ×5, first 2 shown]
	v_add_f64 v[46:47], v[48:49], v[46:47]
	v_fma_f64 v[48:49], v[104:105], s[44:45], -v[182:183]
	v_add_f64 v[48:49], v[48:49], v[46:47]
	v_fma_f64 v[46:47], v[106:107], s[24:25], v[184:185]
	v_add_f64 v[46:47], v[46:47], v[44:45]
	v_fma_f64 v[44:45], v[110:111], s[12:13], -v[186:187]
	v_add_f64 v[44:45], v[44:45], v[48:49]
	v_fma_f64 v[48:49], v[80:81], s[28:29], v[54:55]
	v_fma_f64 v[54:55], v[80:81], s[54:55], v[54:55]
	v_add_f64 v[48:49], v[48:49], v[74:75]
	v_mul_f64 v[74:75], v[116:117], s[44:45]
	v_add_f64 v[54:55], v[54:55], v[72:73]
	v_fma_f64 v[72:73], v[82:83], s[30:31], v[94:95]
	v_fma_f64 v[50:51], v[84:85], s[42:43], v[74:75]
	v_add_f64 v[64:65], v[72:73], v[64:65]
	v_fma_f64 v[72:73], v[84:85], s[46:47], v[74:75]
	v_add_f64 v[48:49], v[50:51], v[48:49]
	;; [unrolled: 2-line block ×4, first 2 shown]
	v_fma_f64 v[50:51], v[82:83], s[30:31], -v[94:95]
	v_add_f64 v[64:65], v[72:73], v[64:65]
	v_fma_f64 v[72:73], v[88:89], s[26:27], v[114:115]
	v_add_f64 v[50:51], v[50:51], v[52:53]
	v_mul_f64 v[52:53], v[124:125], s[16:17]
	v_add_f64 v[54:55], v[72:73], v[54:55]
	v_fma_f64 v[72:73], v[90:91], s[36:37], v[112:113]
	v_fma_f64 v[116:117], v[92:93], s[52:53], v[52:53]
	;; [unrolled: 1-line block ×3, first 2 shown]
	v_add_f64 v[64:65], v[72:73], v[64:65]
	v_fma_f64 v[72:73], v[110:111], s[20:21], v[130:131]
	v_add_f64 v[48:49], v[116:117], v[48:49]
	v_fma_f64 v[116:117], v[86:87], s[44:45], -v[108:109]
	v_add_f64 v[52:53], v[52:53], v[54:55]
	v_fma_f64 v[54:55], v[96:97], s[16:17], v[118:119]
	v_add_f64 v[50:51], v[116:117], v[50:51]
	v_mul_f64 v[116:117], v[128:129], s[4:5]
	v_add_f64 v[54:55], v[54:55], v[64:65]
	v_mul_f64 v[128:129], v[134:135], s[20:21]
	v_fma_f64 v[120:121], v[98:99], s[6:7], v[116:117]
	v_fma_f64 v[64:65], v[98:99], s[34:35], v[116:117]
	v_add_f64 v[48:49], v[120:121], v[48:49]
	v_fma_f64 v[120:121], v[90:91], s[36:37], -v[112:113]
	v_add_f64 v[52:53], v[64:65], v[52:53]
	v_add_f64 v[50:51], v[120:121], v[50:51]
	v_fma_f64 v[120:121], v[96:97], s[16:17], -v[118:119]
	v_add_f64 v[50:51], v[120:121], v[50:51]
	v_mul_f64 v[120:121], v[122:123], s[6:7]
	v_fma_f64 v[122:123], v[100:101], s[4:5], -v[120:121]
	v_fma_f64 v[64:65], v[100:101], s[4:5], v[120:121]
	v_add_f64 v[50:51], v[122:123], v[50:51]
	v_mul_f64 v[122:123], v[132:133], s[18:19]
	v_add_f64 v[54:55], v[64:65], v[54:55]
	v_fma_f64 v[124:125], v[102:103], s[40:41], v[122:123]
	v_fma_f64 v[64:65], v[102:103], s[22:23], v[122:123]
	v_add_f64 v[48:49], v[124:125], v[48:49]
	v_mul_f64 v[124:125], v[126:127], s[40:41]
	v_add_f64 v[52:53], v[64:65], v[52:53]
	v_fma_f64 v[64:65], v[104:105], s[18:19], v[124:125]
	v_fma_f64 v[126:127], v[104:105], s[18:19], -v[124:125]
	v_add_f64 v[64:65], v[64:65], v[54:55]
	v_fma_f64 v[54:55], v[106:107], s[14:15], v[128:129]
	v_add_f64 v[126:127], v[126:127], v[50:51]
	v_fma_f64 v[50:51], v[106:107], s[38:39], v[128:129]
	v_add_f64 v[54:55], v[54:55], v[52:53]
	v_add_f64 v[52:53], v[72:73], v[64:65]
	v_fma_f64 v[64:65], v[84:85], s[6:7], v[142:143]
	v_fma_f64 v[72:73], v[110:111], s[12:13], v[186:187]
	v_add_f64 v[50:51], v[50:51], v[48:49]
	v_fma_f64 v[48:49], v[110:111], s[20:21], -v[130:131]
	v_add_f64 v[58:59], v[64:65], v[58:59]
	v_fma_f64 v[64:65], v[82:83], s[36:37], v[164:165]
	v_add_f64 v[48:49], v[48:49], v[126:127]
	v_add_f64 v[56:57], v[64:65], v[56:57]
	v_fma_f64 v[64:65], v[88:89], s[38:39], v[166:167]
	v_add_f64 v[58:59], v[64:65], v[58:59]
	v_fma_f64 v[64:65], v[86:87], s[4:5], v[168:169]
	;; [unrolled: 2-line block ×10, first 2 shown]
	v_add_f64 v[56:57], v[72:73], v[56:57]
	v_add_f64 v[58:59], v[64:65], v[58:59]
	v_fma_f64 v[64:65], v[82:83], s[18:19], v[146:147]
	v_fma_f64 v[72:73], v[86:87], s[20:21], v[206:207]
	v_add_f64 v[64:65], v[64:65], v[66:67]
	v_fma_f64 v[66:67], v[110:111], s[4:5], v[162:163]
	v_add_f64 v[62:63], v[62:63], v[64:65]
	;; [unrolled: 2-line block ×11, first 2 shown]
	v_add_f64 v[60:61], v[66:67], v[64:65]
	v_fma_f64 v[64:65], v[80:81], s[34:35], v[70:71]
	v_fma_f64 v[66:67], v[82:83], s[4:5], v[202:203]
	;; [unrolled: 1-line block ×3, first 2 shown]
	v_add_f64 v[64:65], v[64:65], v[200:201]
	v_add_f64 v[66:67], v[66:67], v[68:69]
	v_fma_f64 v[68:69], v[88:89], s[52:53], v[212:213]
	v_add_f64 v[64:65], v[70:71], v[64:65]
	v_fma_f64 v[70:71], v[90:91], s[16:17], v[214:215]
	;; [unrolled: 2-line block ×10, first 2 shown]
	v_add_f64 v[70:71], v[70:71], v[66:67]
	v_add_f64 v[66:67], v[72:73], v[64:65]
	;; [unrolled: 1-line block ×3, first 2 shown]
	v_mul_u32_u24_e32 v68, 0x110, v76
	v_add3_u32 v68, 0, v68, v208
	ds_write_b128 v68, v[12:15]
	ds_write_b128 v68, v[28:31] offset:16
	ds_write_b128 v68, v[32:35] offset:32
	;; [unrolled: 1-line block ×16, first 2 shown]
.LBB0_20:
	s_or_b32 exec_lo, exec_lo, s33
	s_waitcnt lgkmcnt(0)
	s_barrier
	buffer_gl0_inv
	ds_read_b128 v[8:11], v210
	ds_read_b128 v[12:15], v77 offset:544
	ds_read_b128 v[36:39], v77 offset:4624
	;; [unrolled: 1-line block ×13, first 2 shown]
	s_and_saveexec_b32 s1, s0
	s_cbranch_execz .LBB0_22
; %bb.21:
	ds_read_b128 v[0:3], v77 offset:3808
	ds_read_b128 v[4:7], v77 offset:7888
.LBB0_22:
	s_or_b32 exec_lo, exec_lo, s1
	v_add_nc_u32_e32 v83, 34, v76
	v_add_nc_u32_e32 v82, 0x44, v76
	v_subrev_nc_u32_e32 v66, 17, v76
	v_add_nc_u16 v64, v76, 0x66
	v_add_nc_u16 v65, v76, 0x88
	v_and_b32_e32 v67, 0xff, v83
	v_add_nc_u16 v73, v76, 0xaa
	v_cndmask_b32_e64 v80, v66, v76, s0
	v_and_b32_e32 v66, 0xff, v82
	v_and_b32_e32 v71, 0xff, v64
	v_mul_lo_u16 v67, 0xf1, v67
	v_add_nc_u16 v74, v76, 0xcc
	v_and_b32_e32 v72, 0xff, v65
	v_mul_lo_u16 v68, 0xf1, v66
	v_and_b32_e32 v85, 0xff, v73
	v_lshrrev_b16 v75, 12, v67
	v_mul_lo_u16 v67, 0xf1, v71
	v_and_b32_e32 v86, 0xff, v74
	v_mov_b32_e32 v81, 0
	v_mul_lo_u16 v66, 0xf1, v72
	v_lshrrev_b16 v122, 12, v68
	v_mul_lo_u16 v89, 0xf1, v85
	v_lshrrev_b16 v123, 12, v67
	v_mul_lo_u16 v90, 0xf1, v86
	v_mul_lo_u16 v87, v75, 17
	v_lshlrev_b64 v[69:70], 4, v[80:81]
	v_lshrrev_b16 v124, 12, v66
	v_mul_lo_u16 v91, v122, 17
	v_lshrrev_b16 v125, 12, v89
	v_mul_lo_u16 v89, v123, 17
	v_lshrrev_b16 v126, 12, v90
	v_mov_b32_e32 v84, 4
	v_sub_nc_u16 v71, v83, v87
	v_mul_lo_u16 v90, v124, 17
	v_sub_nc_u16 v91, v82, v91
	v_add_co_u32 v69, s1, s8, v69
	v_mul_lo_u16 v92, v125, 17
	v_sub_nc_u16 v89, v64, v89
	v_add_co_ci_u32_e64 v70, s1, s9, v70, s1
	v_mul_lo_u16 v93, v126, 17
	v_lshlrev_b32_sdwa v121, v84, v71 dst_sel:DWORD dst_unused:UNUSED_PAD src0_sel:DWORD src1_sel:BYTE_0
	v_sub_nc_u16 v90, v65, v90
	v_lshlrev_b32_sdwa v127, v84, v91 dst_sel:DWORD dst_unused:UNUSED_PAD src0_sel:DWORD src1_sel:BYTE_0
	v_sub_nc_u16 v73, v73, v92
	v_lshlrev_b32_sdwa v128, v84, v89 dst_sel:DWORD dst_unused:UNUSED_PAD src0_sel:DWORD src1_sel:BYTE_0
	s_clause 0x1
	global_load_dwordx4 v[69:72], v[69:70], off
	global_load_dwordx4 v[85:88], v121, s[8:9]
	v_sub_nc_u16 v74, v74, v93
	v_lshlrev_b32_sdwa v129, v84, v90 dst_sel:DWORD dst_unused:UNUSED_PAD src0_sel:DWORD src1_sel:BYTE_0
	s_clause 0x1
	global_load_dwordx4 v[89:92], v127, s[8:9]
	global_load_dwordx4 v[93:96], v128, s[8:9]
	v_lshlrev_b32_sdwa v130, v84, v73 dst_sel:DWORD dst_unused:UNUSED_PAD src0_sel:DWORD src1_sel:BYTE_0
	v_lshlrev_b32_sdwa v131, v84, v74 dst_sel:DWORD dst_unused:UNUSED_PAD src0_sel:DWORD src1_sel:BYTE_0
	s_clause 0x2
	global_load_dwordx4 v[97:100], v129, s[8:9]
	global_load_dwordx4 v[101:104], v130, s[8:9]
	;; [unrolled: 1-line block ×3, first 2 shown]
	v_cmp_lt_u32_e64 s1, 16, v76
	v_and_b32_e32 v75, 0xffff, v75
	v_lshlrev_b32_e32 v80, 4, v80
	s_waitcnt vmcnt(0) lgkmcnt(0)
	s_barrier
	v_cndmask_b32_e64 v132, 0, 0x220, s1
	buffer_gl0_inv
	v_add_nc_u32_e32 v132, 0, v132
	v_add3_u32 v80, v132, v80, v208
	v_mul_f64 v[73:74], v[62:63], v[71:72]
	v_mul_f64 v[71:72], v[60:61], v[71:72]
	;; [unrolled: 1-line block ×14, first 2 shown]
	v_fma_f64 v[60:61], v[60:61], v[69:70], -v[73:74]
	v_fma_f64 v[62:63], v[62:63], v[69:70], v[71:72]
	v_fma_f64 v[69:70], v[36:37], v[85:86], -v[109:110]
	v_fma_f64 v[71:72], v[38:39], v[85:86], v[87:88]
	;; [unrolled: 2-line block ×7, first 2 shown]
	v_and_b32_e32 v99, 0xffff, v122
	v_and_b32_e32 v100, 0xffff, v123
	;; [unrolled: 1-line block ×3, first 2 shown]
	v_add_f64 v[36:37], v[8:9], -v[60:61]
	v_add_f64 v[38:39], v[10:11], -v[62:63]
	;; [unrolled: 1-line block ×14, first 2 shown]
	v_and_b32_e32 v69, 0xffff, v125
	v_and_b32_e32 v70, 0xffff, v126
	v_mad_u32_u24 v71, 0x220, v75, 0
	v_mad_u32_u24 v72, 0x220, v99, 0
	;; [unrolled: 1-line block ×6, first 2 shown]
	v_fma_f64 v[8:9], v[8:9], 2.0, -v[36:37]
	v_fma_f64 v[10:11], v[10:11], 2.0, -v[38:39]
	;; [unrolled: 1-line block ×14, first 2 shown]
	v_add3_u32 v71, v71, v121, v208
	v_add3_u32 v72, v72, v127, v208
	;; [unrolled: 1-line block ×6, first 2 shown]
	ds_write_b128 v80, v[36:39] offset:272
	ds_write_b128 v80, v[8:11]
	ds_write_b128 v71, v[40:43] offset:272
	ds_write_b128 v71, v[12:15]
	ds_write_b128 v72, v[20:23]
	ds_write_b128 v72, v[44:47] offset:272
	ds_write_b128 v73, v[16:19]
	ds_write_b128 v73, v[48:51] offset:272
	;; [unrolled: 2-line block ×5, first 2 shown]
	s_and_saveexec_b32 s1, s0
	s_cbranch_execz .LBB0_24
; %bb.23:
	v_add_nc_u32_e32 v8, 0xee, v76
	v_mov_b32_e32 v9, 0xf0f1
	v_mul_u32_u24_sdwa v9, v8, v9 dst_sel:DWORD dst_unused:UNUSED_PAD src0_sel:WORD_0 src1_sel:DWORD
	v_lshrrev_b32_e32 v9, 20, v9
	v_mul_lo_u16 v9, v9, 17
	v_sub_nc_u16 v8, v8, v9
	v_lshlrev_b32_sdwa v14, v84, v8 dst_sel:DWORD dst_unused:UNUSED_PAD src0_sel:DWORD src1_sel:WORD_0
	global_load_dwordx4 v[8:11], v14, s[8:9]
	s_waitcnt vmcnt(0)
	v_mul_f64 v[12:13], v[4:5], v[10:11]
	v_mul_f64 v[10:11], v[6:7], v[10:11]
	v_fma_f64 v[6:7], v[6:7], v[8:9], v[12:13]
	v_fma_f64 v[4:5], v[4:5], v[8:9], -v[10:11]
	v_add3_u32 v8, 0, v14, v208
	v_add_f64 v[6:7], v[2:3], -v[6:7]
	v_add_f64 v[4:5], v[0:1], -v[4:5]
	v_fma_f64 v[2:3], v[2:3], 2.0, -v[6:7]
	v_fma_f64 v[0:1], v[0:1], 2.0, -v[4:5]
	ds_write_b128 v8, v[0:3] offset:7616
	ds_write_b128 v8, v[4:7] offset:7888
.LBB0_24:
	s_or_b32 exec_lo, exec_lo, s1
	v_lshlrev_b32_e32 v80, 1, v76
	v_lshrrev_b16 v2, 13, v68
	v_lshrrev_b16 v3, 13, v67
	;; [unrolled: 1-line block ×3, first 2 shown]
	v_mov_b32_e32 v4, 5
	v_lshlrev_b64 v[0:1], 4, v[80:81]
	v_mul_lo_u16 v2, v2, 34
	v_mul_lo_u16 v3, v3, 34
	s_waitcnt lgkmcnt(0)
	s_barrier
	buffer_gl0_inv
	v_add_co_u32 v0, s0, s8, v0
	v_add_co_ci_u32_e64 v1, s0, s9, v1, s0
	v_sub_nc_u16 v111, v82, v2
	v_sub_nc_u16 v112, v64, v3
	s_mov_b32 s0, 0xe8584caa
	s_clause 0x1
	global_load_dwordx4 v[72:75], v[0:1], off offset:272
	global_load_dwordx4 v[68:71], v[0:1], off offset:288
	v_mul_lo_u16 v0, v5, 34
	v_lshlrev_b32_sdwa v1, v4, v111 dst_sel:DWORD dst_unused:UNUSED_PAD src0_sel:DWORD src1_sel:BYTE_0
	v_lshlrev_b32_sdwa v128, v84, v111 dst_sel:DWORD dst_unused:UNUSED_PAD src0_sel:DWORD src1_sel:BYTE_0
	;; [unrolled: 1-line block ×3, first 2 shown]
	s_clause 0x1
	global_load_dwordx4 v[32:35], v1, s[8:9] offset:272
	global_load_dwordx4 v[24:27], v1, s[8:9] offset:288
	v_sub_nc_u16 v127, v65, v0
	v_lshlrev_b32_sdwa v0, v4, v112 dst_sel:DWORD dst_unused:UNUSED_PAD src0_sel:DWORD src1_sel:BYTE_0
	s_mov_b32 s1, 0x3febb67a
	s_mov_b32 s5, 0xbfebb67a
	s_mov_b32 s4, s0
	v_lshlrev_b32_sdwa v1, v4, v127 dst_sel:DWORD dst_unused:UNUSED_PAD src0_sel:DWORD src1_sel:BYTE_0
	s_clause 0x3
	global_load_dwordx4 v[28:31], v0, s[8:9] offset:272
	global_load_dwordx4 v[20:23], v0, s[8:9] offset:288
	global_load_dwordx4 v[40:43], v1, s[8:9] offset:272
	global_load_dwordx4 v[36:39], v1, s[8:9] offset:288
	ds_read_b128 v[85:88], v77 offset:2720
	ds_read_b128 v[16:19], v210
	ds_read_b128 v[8:11], v77 offset:544
	ds_read_b128 v[89:92], v77 offset:5440
	;; [unrolled: 1-line block ×13, first 2 shown]
	v_lshlrev_b32_e32 v80, 2, v76
	v_lshlrev_b32_sdwa v127, v84, v127 dst_sel:DWORD dst_unused:UNUSED_PAD src0_sel:DWORD src1_sel:BYTE_0
	s_waitcnt vmcnt(0) lgkmcnt(0)
	s_barrier
	buffer_gl0_inv
	v_lshlrev_b64 v[101:102], 4, v[80:81]
	v_lshlrev_b32_e32 v80, 2, v83
	s_mov_b32 s6, 0x134454ff
	s_mov_b32 s7, 0x3fee6f0e
	;; [unrolled: 1-line block ×4, first 2 shown]
	v_lshlrev_b64 v[83:84], 4, v[80:81]
	v_lshlrev_b32_e32 v80, 2, v82
	v_mul_f64 v[103:104], v[87:88], v[74:75]
	v_mul_f64 v[105:106], v[85:86], v[74:75]
	v_mul_f64 v[107:108], v[91:92], v[70:71]
	v_mul_f64 v[109:110], v[89:90], v[70:71]
	v_mul_f64 v[111:112], v[99:100], v[74:75]
	v_mul_f64 v[74:75], v[97:98], v[74:75]
	v_mul_f64 v[113:114], v[95:96], v[70:71]
	v_mul_f64 v[70:71], v[93:94], v[70:71]
	v_mul_f64 v[115:116], v[58:59], v[34:35]
	v_mul_f64 v[34:35], v[56:57], v[34:35]
	v_mul_f64 v[117:118], v[62:63], v[26:27]
	v_mul_f64 v[26:27], v[60:61], v[26:27]
	v_mul_f64 v[119:120], v[66:67], v[30:31]
	v_mul_f64 v[30:31], v[64:65], v[30:31]
	v_mul_f64 v[121:122], v[46:47], v[22:23]
	v_mul_f64 v[22:23], v[44:45], v[22:23]
	v_mul_f64 v[123:124], v[54:55], v[42:43]
	v_mul_f64 v[42:43], v[52:53], v[42:43]
	v_mul_f64 v[125:126], v[50:51], v[38:39]
	v_mul_f64 v[38:39], v[48:49], v[38:39]
	v_fma_f64 v[85:86], v[85:86], v[72:73], -v[103:104]
	v_fma_f64 v[87:88], v[87:88], v[72:73], v[105:106]
	v_fma_f64 v[89:90], v[89:90], v[68:69], -v[107:108]
	v_fma_f64 v[91:92], v[91:92], v[68:69], v[109:110]
	;; [unrolled: 2-line block ×10, first 2 shown]
	v_add_f64 v[38:39], v[16:17], v[85:86]
	v_add_f64 v[48:49], v[18:19], v[87:88]
	;; [unrolled: 1-line block ×4, first 2 shown]
	v_add_f64 v[46:47], v[87:88], -v[91:92]
	v_add_f64 v[52:53], v[85:86], -v[89:90]
	v_add_f64 v[58:59], v[97:98], v[74:75]
	v_add_f64 v[64:65], v[72:73], v[68:69]
	v_add_f64 v[54:55], v[8:9], v[97:98]
	v_add_f64 v[60:61], v[72:73], -v[68:69]
	v_add_f64 v[62:63], v[10:11], v[72:73]
	v_add_f64 v[72:73], v[56:57], v[34:35]
	v_add_f64 v[85:86], v[32:33], -v[24:25]
	v_add_f64 v[87:88], v[14:15], v[32:33]
	v_add_f64 v[32:33], v[32:33], v[24:25]
	;; [unrolled: 3-line block ×4, first 2 shown]
	v_add_f64 v[105:106], v[40:41], v[36:37]
	v_add_f64 v[109:110], v[2:3], v[40:41]
	v_add_f64 v[111:112], v[40:41], -v[36:37]
	v_fma_f64 v[44:45], v[44:45], -0.5, v[16:17]
	v_fma_f64 v[40:41], v[50:51], -0.5, v[18:19]
	v_add_f64 v[95:96], v[4:5], v[26:27]
	v_add_f64 v[107:108], v[26:27], -v[30:31]
	v_add_f64 v[26:27], v[0:1], v[22:23]
	v_fma_f64 v[50:51], v[58:59], -0.5, v[8:9]
	v_add_f64 v[8:9], v[38:39], v[89:90]
	v_fma_f64 v[38:39], v[64:65], -0.5, v[10:11]
	v_add_f64 v[70:71], v[12:13], v[56:57]
	v_add_f64 v[56:57], v[56:57], -v[34:35]
	v_add_f64 v[10:11], v[48:49], v[91:92]
	v_fma_f64 v[48:49], v[72:73], -0.5, v[12:13]
	v_add_f64 v[12:13], v[54:55], v[74:75]
	v_fma_f64 v[54:55], v[32:33], -0.5, v[14:15]
	;; [unrolled: 2-line block ×3, first 2 shown]
	v_fma_f64 v[62:63], v[97:98], -0.5, v[6:7]
	v_add_f64 v[113:114], v[22:23], -v[42:43]
	v_fma_f64 v[64:65], v[103:104], -0.5, v[0:1]
	v_fma_f64 v[68:69], v[105:106], -0.5, v[2:3]
	v_add_f64 v[2:3], v[28:29], v[20:21]
	v_add_f64 v[6:7], v[87:88], v[24:25]
	v_fma_f64 v[20:21], v[46:47], s[0:1], v[44:45]
	v_fma_f64 v[22:23], v[52:53], s[4:5], v[40:41]
	;; [unrolled: 1-line block ×3, first 2 shown]
	v_add_f64 v[0:1], v[95:96], v[30:31]
	v_add_f64 v[16:17], v[26:27], v[42:43]
	v_fma_f64 v[26:27], v[52:53], s[0:1], v[40:41]
	v_fma_f64 v[28:29], v[60:61], s[0:1], v[50:51]
	;; [unrolled: 1-line block ×3, first 2 shown]
	v_add_f64 v[4:5], v[70:71], v[34:35]
	v_fma_f64 v[32:33], v[60:61], s[4:5], v[50:51]
	v_fma_f64 v[34:35], v[66:67], s[0:1], v[38:39]
	v_add_f64 v[18:19], v[109:110], v[36:37]
	v_fma_f64 v[36:37], v[85:86], s[0:1], v[48:49]
	v_fma_f64 v[38:39], v[56:57], s[4:5], v[54:55]
	;; [unrolled: 1-line block ×12, first 2 shown]
	v_add_co_u32 v60, s0, s8, v101
	v_add_co_ci_u32_e64 v61, s0, s9, v102, s0
	v_add3_u32 v62, 0, v128, v208
	v_add3_u32 v63, 0, v129, v208
	;; [unrolled: 1-line block ×3, first 2 shown]
	ds_write_b128 v77, v[8:11]
	ds_write_b128 v77, v[12:15] offset:1632
	ds_write_b128 v77, v[20:23] offset:544
	;; [unrolled: 1-line block ×14, first 2 shown]
	v_add_co_u32 v28, s0, s8, v83
	v_lshlrev_b64 v[24:25], 4, v[80:81]
	v_add_co_ci_u32_e64 v29, s0, s9, v84, s0
	s_waitcnt lgkmcnt(0)
	s_barrier
	buffer_gl0_inv
	s_clause 0x5
	global_load_dwordx4 v[0:3], v[60:61], off offset:1360
	global_load_dwordx4 v[4:7], v[60:61], off offset:1376
	;; [unrolled: 1-line block ×6, first 2 shown]
	v_add_co_u32 v44, s0, s8, v24
	v_add_co_ci_u32_e64 v45, s0, s9, v25, s0
	s_clause 0x5
	global_load_dwordx4 v[24:27], v[28:29], off offset:1392
	global_load_dwordx4 v[28:31], v[28:29], off offset:1408
	;; [unrolled: 1-line block ×6, first 2 shown]
	ds_read_b128 v[48:51], v77 offset:1632
	ds_read_b128 v[52:55], v77 offset:3264
	;; [unrolled: 1-line block ×13, first 2 shown]
	s_mov_b32 s4, 0x4755a5e
	s_mov_b32 s5, 0x3fe2cf23
	;; [unrolled: 1-line block ×6, first 2 shown]
	s_waitcnt vmcnt(9) lgkmcnt(10)
	v_mul_f64 v[108:109], v[58:59], v[10:11]
	v_mul_f64 v[104:105], v[50:51], v[2:3]
	;; [unrolled: 1-line block ×6, first 2 shown]
	s_waitcnt vmcnt(8) lgkmcnt(9)
	v_mul_f64 v[110:111], v[62:63], v[14:15]
	v_mul_f64 v[14:15], v[60:61], v[14:15]
	s_waitcnt vmcnt(6) lgkmcnt(7)
	v_mul_f64 v[112:113], v[66:67], v[22:23]
	v_mul_f64 v[22:23], v[64:65], v[22:23]
	s_waitcnt lgkmcnt(6)
	v_mul_f64 v[114:115], v[70:71], v[18:19]
	v_mul_f64 v[18:19], v[68:69], v[18:19]
	s_waitcnt vmcnt(5)
	v_mul_f64 v[116:117], v[74:75], v[26:27]
	v_mul_f64 v[26:27], v[72:73], v[26:27]
	s_waitcnt vmcnt(4) lgkmcnt(5)
	v_mul_f64 v[118:119], v[82:83], v[30:31]
	v_mul_f64 v[30:31], v[80:81], v[30:31]
	s_waitcnt vmcnt(3) lgkmcnt(3)
	;; [unrolled: 3-line block ×5, first 2 shown]
	v_mul_f64 v[126:127], v[102:103], v[46:47]
	v_mul_f64 v[46:47], v[100:101], v[46:47]
	v_fma_f64 v[48:49], v[48:49], v[0:1], -v[104:105]
	v_fma_f64 v[50:51], v[50:51], v[0:1], v[2:3]
	v_fma_f64 v[52:53], v[52:53], v[4:5], -v[106:107]
	v_fma_f64 v[54:55], v[54:55], v[4:5], v[6:7]
	;; [unrolled: 2-line block ×4, first 2 shown]
	ds_read_b128 v[0:3], v210
	ds_read_b128 v[4:7], v77 offset:544
	v_fma_f64 v[12:13], v[64:65], v[20:21], -v[112:113]
	v_fma_f64 v[20:21], v[66:67], v[20:21], v[22:23]
	v_fma_f64 v[22:23], v[68:69], v[16:17], -v[114:115]
	v_fma_f64 v[16:17], v[70:71], v[16:17], v[18:19]
	;; [unrolled: 2-line block ×8, first 2 shown]
	v_add_f64 v[58:59], v[52:53], v[56:57]
	v_add_f64 v[64:65], v[48:49], -v[52:53]
	s_waitcnt lgkmcnt(1)
	v_add_f64 v[46:47], v[0:1], v[48:49]
	v_add_f64 v[66:67], v[10:11], -v[56:57]
	v_add_f64 v[74:75], v[2:3], v[50:51]
	v_add_f64 v[80:81], v[54:55], v[8:9]
	;; [unrolled: 1-line block ×4, first 2 shown]
	v_add_f64 v[70:71], v[52:53], -v[48:49]
	v_add_f64 v[72:73], v[56:57], -v[10:11]
	s_waitcnt lgkmcnt(0)
	v_add_f64 v[96:97], v[4:5], v[12:13]
	v_add_f64 v[98:99], v[22:23], v[18:19]
	;; [unrolled: 1-line block ×6, first 2 shown]
	v_add_f64 v[88:89], v[50:51], -v[54:55]
	v_add_f64 v[90:91], v[14:15], -v[8:9]
	;; [unrolled: 1-line block ×6, first 2 shown]
	v_add_f64 v[128:129], v[84:85], v[30:31]
	v_add_f64 v[130:131], v[34:35], v[38:39]
	;; [unrolled: 1-line block ×6, first 2 shown]
	v_add_f64 v[60:61], v[50:51], -v[14:15]
	v_add_f64 v[62:63], v[54:55], -v[8:9]
	;; [unrolled: 1-line block ×11, first 2 shown]
	v_add_f64 v[46:47], v[46:47], v[52:53]
	v_fma_f64 v[52:53], v[58:59], -0.5, v[0:1]
	v_add_f64 v[58:59], v[64:65], v[66:67]
	v_add_f64 v[54:55], v[74:75], v[54:55]
	v_fma_f64 v[66:67], v[80:81], -0.5, v[2:3]
	v_fma_f64 v[0:1], v[68:69], -0.5, v[0:1]
	;; [unrolled: 1-line block ×3, first 2 shown]
	v_add_f64 v[110:111], v[22:23], -v[12:13]
	v_add_f64 v[112:113], v[18:19], -v[26:27]
	v_add_f64 v[102:103], v[16:17], -v[24:25]
	v_add_f64 v[12:13], v[12:13], -v[26:27]
	v_add_f64 v[118:119], v[22:23], -v[18:19]
	v_add_f64 v[64:65], v[70:71], v[72:73]
	v_add_f64 v[22:23], v[96:97], v[22:23]
	v_fma_f64 v[70:71], v[98:99], -0.5, v[4:5]
	v_fma_f64 v[4:5], v[108:109], -0.5, v[4:5]
	v_add_f64 v[16:17], v[114:115], v[16:17]
	v_fma_f64 v[80:81], v[116:117], -0.5, v[6:7]
	v_fma_f64 v[6:7], v[124:125], -0.5, v[6:7]
	v_add_f64 v[122:123], v[28:29], -v[24:25]
	v_add_f64 v[134:135], v[36:37], -v[40:41]
	;; [unrolled: 1-line block ×6, first 2 shown]
	v_add_f64 v[68:69], v[88:89], v[90:91]
	v_add_f64 v[90:91], v[20:21], v[126:127]
	;; [unrolled: 1-line block ×3, first 2 shown]
	v_fma_f64 v[34:35], v[130:131], -0.5, v[84:85]
	v_add_f64 v[36:37], v[146:147], v[36:37]
	v_fma_f64 v[96:97], v[148:149], -0.5, v[86:87]
	v_fma_f64 v[84:85], v[140:141], -0.5, v[84:85]
	;; [unrolled: 1-line block ×3, first 2 shown]
	v_add_f64 v[94:95], v[8:9], -v[14:15]
	v_add_f64 v[72:73], v[104:105], v[106:107]
	v_add_f64 v[104:105], v[32:33], v[158:159]
	;; [unrolled: 1-line block ×3, first 2 shown]
	v_fma_f64 v[46:47], v[60:61], s[6:7], v[52:53]
	v_add_f64 v[8:9], v[54:55], v[8:9]
	v_fma_f64 v[54:55], v[48:49], s[10:11], v[66:67]
	v_fma_f64 v[52:53], v[60:61], s[10:11], v[52:53]
	;; [unrolled: 1-line block ×5, first 2 shown]
	v_add_f64 v[74:75], v[110:111], v[112:113]
	v_fma_f64 v[110:111], v[82:83], s[10:11], v[2:3]
	v_fma_f64 v[66:67], v[48:49], s[6:7], v[66:67]
	v_add_f64 v[18:19], v[22:23], v[18:19]
	v_fma_f64 v[22:23], v[100:101], s[6:7], v[70:71]
	v_fma_f64 v[70:71], v[100:101], s[10:11], v[70:71]
	;; [unrolled: 1-line block ×4, first 2 shown]
	v_add_f64 v[16:17], v[16:17], v[24:25]
	v_fma_f64 v[24:25], v[12:13], s[10:11], v[80:81]
	v_fma_f64 v[116:117], v[118:119], s[6:7], v[6:7]
	v_add_f64 v[88:89], v[120:121], v[122:123]
	v_fma_f64 v[120:121], v[118:119], s[10:11], v[6:7]
	v_fma_f64 v[80:81], v[12:13], s[6:7], v[80:81]
	v_add_f64 v[138:139], v[42:43], -v[38:39]
	v_add_f64 v[144:145], v[38:39], -v[42:43]
	v_add_f64 v[154:155], v[44:45], -v[40:41]
	v_add_f64 v[20:21], v[20:21], v[38:39]
	v_fma_f64 v[38:39], v[132:133], s[6:7], v[34:35]
	v_add_f64 v[36:37], v[36:37], v[40:41]
	v_fma_f64 v[40:41], v[30:31], s[10:11], v[96:97]
	v_fma_f64 v[122:123], v[134:135], s[10:11], v[84:85]
	;; [unrolled: 1-line block ×7, first 2 shown]
	v_add_f64 v[0:1], v[32:33], v[10:11]
	v_fma_f64 v[32:33], v[62:63], s[4:5], v[46:47]
	v_add_f64 v[2:3], v[8:9], v[14:15]
	v_fma_f64 v[14:15], v[82:83], s[8:9], v[54:55]
	;; [unrolled: 2-line block ×3, first 2 shown]
	v_fma_f64 v[52:53], v[60:61], s[4:5], v[56:57]
	v_fma_f64 v[56:57], v[60:61], s[8:9], v[106:107]
	;; [unrolled: 1-line block ×13, first 2 shown]
	v_add_f64 v[92:93], v[136:137], v[138:139]
	v_add_f64 v[98:99], v[152:153], v[154:155]
	v_fma_f64 v[108:109], v[134:135], s[4:5], v[38:39]
	v_fma_f64 v[114:115], v[150:151], s[8:9], v[40:41]
	v_add_f64 v[94:95], v[142:143], v[144:145]
	v_fma_f64 v[112:113], v[132:133], s[4:5], v[122:123]
	v_fma_f64 v[116:117], v[30:31], s[8:9], v[124:125]
	;; [unrolled: 1-line block ×6, first 2 shown]
	v_add_f64 v[4:5], v[18:19], v[26:27]
	v_add_f64 v[6:7], v[16:17], v[28:29]
	;; [unrolled: 1-line block ×4, first 2 shown]
	v_fma_f64 v[12:13], v[58:59], s[0:1], v[32:33]
	v_fma_f64 v[14:15], v[68:69], s[0:1], v[14:15]
	;; [unrolled: 1-line block ×24, first 2 shown]
	v_add_nc_u32_e32 v60, v211, v208
	s_barrier
	buffer_gl0_inv
	ds_write_b128 v77, v[0:3]
	ds_write_b128 v77, v[4:7] offset:544
	ds_write_b128 v77, v[8:11] offset:1088
	;; [unrolled: 1-line block ×14, first 2 shown]
	s_waitcnt lgkmcnt(0)
	s_barrier
	buffer_gl0_inv
	s_and_saveexec_b32 s0, vcc_lo
	s_cbranch_execz .LBB0_26
; %bb.25:
	v_lshl_add_u32 v28, v76, 4, v209
	v_mov_b32_e32 v77, 0
	v_add_nc_u32_e32 v8, 34, v76
	v_add_co_u32 v30, vcc_lo, s2, v78
	ds_read_b128 v[0:3], v28
	ds_read_b128 v[4:7], v28 offset:544
	v_mov_b32_e32 v9, v77
	v_lshlrev_b64 v[10:11], 4, v[76:77]
	v_add_co_ci_u32_e32 v31, vcc_lo, s3, v79, vcc_lo
	v_add_nc_u32_e32 v12, 0x44, v76
	v_lshlrev_b64 v[8:9], 4, v[8:9]
	v_mov_b32_e32 v13, v77
	v_add_co_u32 v10, vcc_lo, v30, v10
	v_add_co_ci_u32_e32 v11, vcc_lo, v31, v11, vcc_lo
	v_add_co_u32 v8, vcc_lo, v30, v8
	v_add_co_ci_u32_e32 v9, vcc_lo, v31, v9, vcc_lo
	v_lshlrev_b64 v[12:13], 4, v[12:13]
	v_add_nc_u32_e32 v14, 0x66, v76
	v_mov_b32_e32 v15, v77
	v_add_nc_u32_e32 v22, 0xaa, v76
	s_waitcnt lgkmcnt(1)
	global_store_dwordx4 v[10:11], v[0:3], off
	s_waitcnt lgkmcnt(0)
	global_store_dwordx4 v[8:9], v[4:7], off
	v_add_nc_u32_e32 v8, 0x88, v76
	v_mov_b32_e32 v9, v77
	v_add_co_u32 v16, vcc_lo, v30, v12
	v_add_co_ci_u32_e32 v17, vcc_lo, v31, v13, vcc_lo
	ds_read_b128 v[0:3], v28 offset:1088
	ds_read_b128 v[4:7], v28 offset:1632
	v_lshlrev_b64 v[18:19], 4, v[14:15]
	v_lshlrev_b64 v[20:21], 4, v[8:9]
	ds_read_b128 v[8:11], v28 offset:2176
	ds_read_b128 v[12:15], v28 offset:2720
	v_mov_b32_e32 v23, v77
	v_add_nc_u32_e32 v24, 0xcc, v76
	v_mov_b32_e32 v25, v77
	v_add_co_u32 v18, vcc_lo, v30, v18
	v_lshlrev_b64 v[22:23], 4, v[22:23]
	v_add_co_ci_u32_e32 v19, vcc_lo, v31, v19, vcc_lo
	v_add_co_u32 v20, vcc_lo, v30, v20
	v_add_co_ci_u32_e32 v21, vcc_lo, v31, v21, vcc_lo
	v_add_co_u32 v22, vcc_lo, v30, v22
	v_add_co_ci_u32_e32 v23, vcc_lo, v31, v23, vcc_lo
	s_waitcnt lgkmcnt(3)
	global_store_dwordx4 v[16:17], v[0:3], off
	s_waitcnt lgkmcnt(2)
	global_store_dwordx4 v[18:19], v[4:7], off
	;; [unrolled: 2-line block ×4, first 2 shown]
	v_lshlrev_b64 v[0:1], 4, v[24:25]
	v_add_nc_u32_e32 v8, 0xee, v76
	v_mov_b32_e32 v9, v77
	v_add_nc_u32_e32 v10, 0x110, v76
	v_mov_b32_e32 v11, v77
	v_add_nc_u32_e32 v22, 0x132, v76
	v_add_co_u32 v16, vcc_lo, v30, v0
	v_add_co_ci_u32_e32 v17, vcc_lo, v31, v1, vcc_lo
	ds_read_b128 v[0:3], v28 offset:3264
	ds_read_b128 v[4:7], v28 offset:3808
	v_lshlrev_b64 v[18:19], 4, v[8:9]
	v_lshlrev_b64 v[20:21], 4, v[10:11]
	ds_read_b128 v[8:11], v28 offset:4352
	ds_read_b128 v[12:15], v28 offset:4896
	v_mov_b32_e32 v23, v77
	v_add_nc_u32_e32 v24, 0x154, v76
	v_add_co_u32 v18, vcc_lo, v30, v18
	v_lshlrev_b64 v[22:23], 4, v[22:23]
	v_add_co_ci_u32_e32 v19, vcc_lo, v31, v19, vcc_lo
	v_add_co_u32 v20, vcc_lo, v30, v20
	v_add_co_ci_u32_e32 v21, vcc_lo, v31, v21, vcc_lo
	v_add_co_u32 v22, vcc_lo, v30, v22
	s_waitcnt lgkmcnt(3)
	global_store_dwordx4 v[16:17], v[0:3], off
	s_waitcnt lgkmcnt(2)
	global_store_dwordx4 v[18:19], v[4:7], off
	v_add_nc_u32_e32 v2, 0x176, v76
	v_mov_b32_e32 v3, v77
	v_add_co_ci_u32_e32 v23, vcc_lo, v31, v23, vcc_lo
	v_lshlrev_b64 v[0:1], 4, v[24:25]
	s_waitcnt lgkmcnt(1)
	global_store_dwordx4 v[20:21], v[8:11], off
	s_waitcnt lgkmcnt(0)
	global_store_dwordx4 v[22:23], v[12:15], off
	v_lshlrev_b64 v[8:9], 4, v[2:3]
	v_add_nc_u32_e32 v10, 0x198, v76
	v_mov_b32_e32 v11, v77
	v_add_co_u32 v20, vcc_lo, v30, v0
	v_add_co_ci_u32_e32 v21, vcc_lo, v31, v1, vcc_lo
	v_add_co_u32 v22, vcc_lo, v30, v8
	ds_read_b128 v[0:3], v28 offset:5440
	ds_read_b128 v[4:7], v28 offset:5984
	v_add_co_ci_u32_e32 v23, vcc_lo, v31, v9, vcc_lo
	v_lshlrev_b64 v[26:27], 4, v[10:11]
	ds_read_b128 v[8:11], v28 offset:6528
	ds_read_b128 v[12:15], v28 offset:7072
	;; [unrolled: 1-line block ×3, first 2 shown]
	v_add_nc_u32_e32 v24, 0x1ba, v76
	v_add_nc_u32_e32 v76, 0x1dc, v76
	v_add_co_u32 v26, vcc_lo, v30, v26
	v_lshlrev_b64 v[24:25], 4, v[24:25]
	v_lshlrev_b64 v[28:29], 4, v[76:77]
	v_add_co_ci_u32_e32 v27, vcc_lo, v31, v27, vcc_lo
	v_add_co_u32 v24, vcc_lo, v30, v24
	v_add_co_ci_u32_e32 v25, vcc_lo, v31, v25, vcc_lo
	v_add_co_u32 v28, vcc_lo, v30, v28
	v_add_co_ci_u32_e32 v29, vcc_lo, v31, v29, vcc_lo
	s_waitcnt lgkmcnt(4)
	global_store_dwordx4 v[20:21], v[0:3], off
	s_waitcnt lgkmcnt(3)
	global_store_dwordx4 v[22:23], v[4:7], off
	;; [unrolled: 2-line block ×5, first 2 shown]
.LBB0_26:
	s_endpgm
	.section	.rodata,"a",@progbits
	.p2align	6, 0x0
	.amdhsa_kernel fft_rtc_fwd_len510_factors_17_2_3_5_wgs_238_tpt_34_halfLds_dp_ip_CI_unitstride_sbrr_C2R_dirReg
		.amdhsa_group_segment_fixed_size 0
		.amdhsa_private_segment_fixed_size 0
		.amdhsa_kernarg_size 88
		.amdhsa_user_sgpr_count 6
		.amdhsa_user_sgpr_private_segment_buffer 1
		.amdhsa_user_sgpr_dispatch_ptr 0
		.amdhsa_user_sgpr_queue_ptr 0
		.amdhsa_user_sgpr_kernarg_segment_ptr 1
		.amdhsa_user_sgpr_dispatch_id 0
		.amdhsa_user_sgpr_flat_scratch_init 0
		.amdhsa_user_sgpr_private_segment_size 0
		.amdhsa_wavefront_size32 1
		.amdhsa_uses_dynamic_stack 0
		.amdhsa_system_sgpr_private_segment_wavefront_offset 0
		.amdhsa_system_sgpr_workgroup_id_x 1
		.amdhsa_system_sgpr_workgroup_id_y 0
		.amdhsa_system_sgpr_workgroup_id_z 0
		.amdhsa_system_sgpr_workgroup_info 0
		.amdhsa_system_vgpr_workitem_id 0
		.amdhsa_next_free_vgpr 232
		.amdhsa_next_free_sgpr 56
		.amdhsa_reserve_vcc 1
		.amdhsa_reserve_flat_scratch 0
		.amdhsa_float_round_mode_32 0
		.amdhsa_float_round_mode_16_64 0
		.amdhsa_float_denorm_mode_32 3
		.amdhsa_float_denorm_mode_16_64 3
		.amdhsa_dx10_clamp 1
		.amdhsa_ieee_mode 1
		.amdhsa_fp16_overflow 0
		.amdhsa_workgroup_processor_mode 1
		.amdhsa_memory_ordered 1
		.amdhsa_forward_progress 0
		.amdhsa_shared_vgpr_count 0
		.amdhsa_exception_fp_ieee_invalid_op 0
		.amdhsa_exception_fp_denorm_src 0
		.amdhsa_exception_fp_ieee_div_zero 0
		.amdhsa_exception_fp_ieee_overflow 0
		.amdhsa_exception_fp_ieee_underflow 0
		.amdhsa_exception_fp_ieee_inexact 0
		.amdhsa_exception_int_div_zero 0
	.end_amdhsa_kernel
	.text
.Lfunc_end0:
	.size	fft_rtc_fwd_len510_factors_17_2_3_5_wgs_238_tpt_34_halfLds_dp_ip_CI_unitstride_sbrr_C2R_dirReg, .Lfunc_end0-fft_rtc_fwd_len510_factors_17_2_3_5_wgs_238_tpt_34_halfLds_dp_ip_CI_unitstride_sbrr_C2R_dirReg
                                        ; -- End function
	.section	.AMDGPU.csdata,"",@progbits
; Kernel info:
; codeLenInByte = 15864
; NumSgprs: 58
; NumVgprs: 232
; ScratchSize: 0
; MemoryBound: 0
; FloatMode: 240
; IeeeMode: 1
; LDSByteSize: 0 bytes/workgroup (compile time only)
; SGPRBlocks: 7
; VGPRBlocks: 28
; NumSGPRsForWavesPerEU: 58
; NumVGPRsForWavesPerEU: 232
; Occupancy: 4
; WaveLimiterHint : 1
; COMPUTE_PGM_RSRC2:SCRATCH_EN: 0
; COMPUTE_PGM_RSRC2:USER_SGPR: 6
; COMPUTE_PGM_RSRC2:TRAP_HANDLER: 0
; COMPUTE_PGM_RSRC2:TGID_X_EN: 1
; COMPUTE_PGM_RSRC2:TGID_Y_EN: 0
; COMPUTE_PGM_RSRC2:TGID_Z_EN: 0
; COMPUTE_PGM_RSRC2:TIDIG_COMP_CNT: 0
	.text
	.p2alignl 6, 3214868480
	.fill 48, 4, 3214868480
	.type	__hip_cuid_da4e780152441d81,@object ; @__hip_cuid_da4e780152441d81
	.section	.bss,"aw",@nobits
	.globl	__hip_cuid_da4e780152441d81
__hip_cuid_da4e780152441d81:
	.byte	0                               ; 0x0
	.size	__hip_cuid_da4e780152441d81, 1

	.ident	"AMD clang version 19.0.0git (https://github.com/RadeonOpenCompute/llvm-project roc-6.4.0 25133 c7fe45cf4b819c5991fe208aaa96edf142730f1d)"
	.section	".note.GNU-stack","",@progbits
	.addrsig
	.addrsig_sym __hip_cuid_da4e780152441d81
	.amdgpu_metadata
---
amdhsa.kernels:
  - .args:
      - .actual_access:  read_only
        .address_space:  global
        .offset:         0
        .size:           8
        .value_kind:     global_buffer
      - .offset:         8
        .size:           8
        .value_kind:     by_value
      - .actual_access:  read_only
        .address_space:  global
        .offset:         16
        .size:           8
        .value_kind:     global_buffer
      - .actual_access:  read_only
        .address_space:  global
        .offset:         24
        .size:           8
        .value_kind:     global_buffer
      - .offset:         32
        .size:           8
        .value_kind:     by_value
      - .actual_access:  read_only
        .address_space:  global
        .offset:         40
        .size:           8
        .value_kind:     global_buffer
      - .actual_access:  read_only
        .address_space:  global
        .offset:         48
        .size:           8
        .value_kind:     global_buffer
      - .offset:         56
        .size:           4
        .value_kind:     by_value
      - .actual_access:  read_only
        .address_space:  global
        .offset:         64
        .size:           8
        .value_kind:     global_buffer
      - .actual_access:  read_only
        .address_space:  global
        .offset:         72
        .size:           8
        .value_kind:     global_buffer
      - .address_space:  global
        .offset:         80
        .size:           8
        .value_kind:     global_buffer
    .group_segment_fixed_size: 0
    .kernarg_segment_align: 8
    .kernarg_segment_size: 88
    .language:       OpenCL C
    .language_version:
      - 2
      - 0
    .max_flat_workgroup_size: 238
    .name:           fft_rtc_fwd_len510_factors_17_2_3_5_wgs_238_tpt_34_halfLds_dp_ip_CI_unitstride_sbrr_C2R_dirReg
    .private_segment_fixed_size: 0
    .sgpr_count:     58
    .sgpr_spill_count: 0
    .symbol:         fft_rtc_fwd_len510_factors_17_2_3_5_wgs_238_tpt_34_halfLds_dp_ip_CI_unitstride_sbrr_C2R_dirReg.kd
    .uniform_work_group_size: 1
    .uses_dynamic_stack: false
    .vgpr_count:     232
    .vgpr_spill_count: 0
    .wavefront_size: 32
    .workgroup_processor_mode: 1
amdhsa.target:   amdgcn-amd-amdhsa--gfx1030
amdhsa.version:
  - 1
  - 2
...

	.end_amdgpu_metadata
